;; amdgpu-corpus repo=ROCm/rocFFT kind=compiled arch=gfx1100 opt=O3
	.text
	.amdgcn_target "amdgcn-amd-amdhsa--gfx1100"
	.amdhsa_code_object_version 6
	.protected	bluestein_single_fwd_len340_dim1_dp_op_CI_CI ; -- Begin function bluestein_single_fwd_len340_dim1_dp_op_CI_CI
	.globl	bluestein_single_fwd_len340_dim1_dp_op_CI_CI
	.p2align	8
	.type	bluestein_single_fwd_len340_dim1_dp_op_CI_CI,@function
bluestein_single_fwd_len340_dim1_dp_op_CI_CI: ; @bluestein_single_fwd_len340_dim1_dp_op_CI_CI
; %bb.0:
	s_load_b128 s[4:7], s[0:1], 0x28
	v_mul_u32_u24_e32 v1, 0x788, v0
	s_mov_b32 s2, exec_lo
	s_delay_alu instid0(VALU_DEP_1) | instskip(NEXT) | instid1(VALU_DEP_1)
	v_lshrrev_b32_e32 v1, 16, v1
	v_mad_u64_u32 v[3:4], null, s15, 3, v[1:2]
	v_mov_b32_e32 v4, 0
                                        ; kill: def $vgpr2 killed $sgpr0 killed $exec
	s_waitcnt lgkmcnt(0)
	s_delay_alu instid0(VALU_DEP_1)
	v_cmpx_gt_u64_e64 s[4:5], v[3:4]
	s_cbranch_execz .LBB0_15
; %bb.1:
	v_mul_hi_u32 v2, 0xaaaaaaab, v3
	v_mul_lo_u16 v1, v1, 34
	s_clause 0x1
	s_load_b64 s[12:13], s[0:1], 0x0
	s_load_b64 s[14:15], s[0:1], 0x38
	s_delay_alu instid0(VALU_DEP_1) | instskip(SKIP_1) | instid1(VALU_DEP_4)
	v_sub_nc_u16 v0, v0, v1
	v_mov_b32_e32 v1, v3
	v_lshrrev_b32_e32 v2, 1, v2
	s_delay_alu instid0(VALU_DEP_3) | instskip(NEXT) | instid1(VALU_DEP_2)
	v_cmp_gt_u16_e32 vcc_lo, 20, v0
	v_lshl_add_u32 v2, v2, 1, v2
	scratch_store_b64 off, v[1:2], off offset:8 ; 8-byte Folded Spill
	v_sub_nc_u32_e32 v1, v3, v2
	v_and_b32_e32 v2, 0xffff, v0
	s_delay_alu instid0(VALU_DEP_2) | instskip(NEXT) | instid1(VALU_DEP_2)
	v_mul_u32_u24_e32 v192, 0x154, v1
	v_or_b32_e32 v0, 0xa0, v2
	v_lshlrev_b32_e32 v255, 4, v2
	scratch_store_b32 off, v0, off offset:24 ; 4-byte Folded Spill
	v_lshlrev_b32_e32 v0, 4, v192
	s_clause 0x1
	scratch_store_b32 off, v0, off offset:4
	scratch_store_b32 off, v2, off
	v_or_b32_e32 v0, 0x140, v2
	scratch_store_b32 off, v0, off offset:20 ; 4-byte Folded Spill
	s_and_saveexec_b32 s3, vcc_lo
	s_cbranch_execz .LBB0_3
; %bb.2:
	s_load_b64 s[4:5], s[0:1], 0x18
	s_waitcnt lgkmcnt(0)
	v_add_co_u32 v26, s2, s12, v255
	s_delay_alu instid0(VALU_DEP_1)
	v_add_co_ci_u32_e64 v27, null, s13, 0, s2
	s_load_b128 s[8:11], s[4:5], 0x0
	s_clause 0x1
	global_load_b128 v[0:3], v255, s[12:13]
	global_load_b128 v[4:7], v255, s[12:13] offset:320
	scratch_load_b64 v[8:9], off, off offset:8 ; 8-byte Folded Reload
	s_waitcnt lgkmcnt(0)
	s_mul_i32 s2, s9, 0x140
	s_mul_hi_u32 s4, s8, 0x140
	s_mul_i32 s5, s8, 0x140
	s_add_i32 s4, s4, s2
	s_waitcnt vmcnt(0)
	v_mov_b32_e32 v44, v8
	s_clause 0x1
	global_load_b128 v[8:11], v255, s[12:13] offset:640
	global_load_b128 v[12:15], v255, s[12:13] offset:960
	scratch_load_b32 v179, off, off         ; 4-byte Folded Reload
	s_clause 0x5
	global_load_b128 v[16:19], v255, s[12:13] offset:1280
	global_load_b128 v[20:23], v255, s[12:13] offset:1600
	;; [unrolled: 1-line block ×6, first 2 shown]
	v_mad_u64_u32 v[24:25], null, s10, v44, 0
	s_delay_alu instid0(VALU_DEP_1)
	v_mad_u64_u32 v[58:59], null, s11, v44, v[25:26]
	s_clause 0x2
	global_load_b128 v[44:47], v255, s[12:13] offset:3200
	global_load_b128 v[48:51], v255, s[12:13] offset:3520
	;; [unrolled: 1-line block ×3, first 2 shown]
	scratch_load_b32 v71, off, off offset:20 ; 4-byte Folded Reload
	s_waitcnt vmcnt(10)
	v_mad_u64_u32 v[56:57], null, s8, v179, 0
	v_or_b32_e32 v62, 0xa0, v179
	s_delay_alu instid0(VALU_DEP_2) | instskip(NEXT) | instid1(VALU_DEP_2)
	v_mad_u64_u32 v[59:60], null, s9, v179, v[57:58]
	v_mad_u64_u32 v[60:61], null, s8, v62, 0
	v_mov_b32_e32 v25, v58
	s_waitcnt vmcnt(0)
	v_lshlrev_b32_e32 v67, 4, v71
	s_delay_alu instid0(VALU_DEP_4) | instskip(NEXT) | instid1(VALU_DEP_3)
	v_mov_b32_e32 v57, v59
	v_lshlrev_b64 v[24:25], 4, v[24:25]
	v_mad_u64_u32 v[58:59], null, s8, v71, 0
	s_delay_alu instid0(VALU_DEP_3) | instskip(NEXT) | instid1(VALU_DEP_3)
	v_lshlrev_b64 v[56:57], 4, v[56:57]
	v_add_co_u32 v66, s2, s6, v24
	s_delay_alu instid0(VALU_DEP_1) | instskip(SKIP_1) | instid1(VALU_DEP_3)
	v_add_co_ci_u32_e64 v70, s2, s7, v25, s2
	v_mov_b32_e32 v24, v61
	v_add_co_u32 v64, s2, v66, v56
	s_delay_alu instid0(VALU_DEP_1) | instskip(SKIP_1) | instid1(VALU_DEP_3)
	v_add_co_ci_u32_e64 v65, s2, v70, v57, s2
	v_mov_b32_e32 v25, v59
	v_add_co_u32 v68, s2, v64, s5
	s_delay_alu instid0(VALU_DEP_1) | instskip(NEXT) | instid1(VALU_DEP_3)
	v_add_co_ci_u32_e64 v69, s2, s4, v65, s2
	v_mad_u64_u32 v[56:57], null, s9, v62, v[24:25]
	s_delay_alu instid0(VALU_DEP_3) | instskip(NEXT) | instid1(VALU_DEP_1)
	v_add_co_u32 v72, s2, v68, s5
	v_add_co_ci_u32_e64 v73, s2, s4, v69, s2
	v_mad_u64_u32 v[62:63], null, s9, v71, v[25:26]
	s_delay_alu instid0(VALU_DEP_3) | instskip(NEXT) | instid1(VALU_DEP_1)
	v_add_co_u32 v76, s2, v72, s5
	v_add_co_ci_u32_e64 v77, s2, s4, v73, s2
	v_mov_b32_e32 v61, v56
	s_delay_alu instid0(VALU_DEP_3) | instskip(NEXT) | instid1(VALU_DEP_1)
	v_add_co_u32 v80, s2, v76, s5
	v_add_co_ci_u32_e64 v81, s2, s4, v77, s2
	v_mov_b32_e32 v59, v62
	s_delay_alu instid0(VALU_DEP_3) | instskip(NEXT) | instid1(VALU_DEP_1)
	v_add_co_u32 v84, s2, v80, s5
	v_add_co_ci_u32_e64 v85, s2, s4, v81, s2
	v_lshlrev_b64 v[24:25], 4, v[60:61]
	s_delay_alu instid0(VALU_DEP_3) | instskip(NEXT) | instid1(VALU_DEP_1)
	v_add_co_u32 v88, s2, v84, s5
	v_add_co_ci_u32_e64 v89, s2, s4, v85, s2
	v_lshlrev_b64 v[56:57], 4, v[58:59]
	s_delay_alu instid0(VALU_DEP_3) | instskip(NEXT) | instid1(VALU_DEP_1)
	v_add_co_u32 v92, s2, v88, s5
	v_add_co_ci_u32_e64 v93, s2, s4, v89, s2
	v_add_co_u32 v58, s2, v66, v24
	s_delay_alu instid0(VALU_DEP_1) | instskip(NEXT) | instid1(VALU_DEP_3)
	v_add_co_ci_u32_e64 v59, s2, v70, v25, s2
	v_mad_u64_u32 v[96:97], null, 0x280, s8, v[92:93]
	v_add_co_u32 v60, s2, v66, v56
	s_delay_alu instid0(VALU_DEP_1) | instskip(SKIP_1) | instid1(VALU_DEP_4)
	v_add_co_ci_u32_e64 v61, s2, v70, v57, s2
	v_add_co_u32 v128, s2, 0x1000, v26
	v_mov_b32_e32 v66, v97
	v_add_co_ci_u32_e64 v129, s2, 0, v27, s2
	v_add_co_u32 v100, s2, v96, s5
	s_delay_alu instid0(VALU_DEP_3)
	v_mad_u64_u32 v[94:95], null, 0x280, s9, v[66:67]
	global_load_b128 v[24:27], v67, s[12:13]
	s_clause 0x6
	global_load_b128 v[56:59], v[58:59], off
	global_load_b128 v[60:63], v[60:61], off
	;; [unrolled: 1-line block ×9, first 2 shown]
	v_mov_b32_e32 v97, v94
	global_load_b128 v[92:95], v[92:93], off
	v_add_co_ci_u32_e64 v101, s2, s4, v97, s2
	v_add_co_u32 v104, s2, v100, s5
	global_load_b128 v[96:99], v[96:97], off
	v_add_co_ci_u32_e64 v105, s2, s4, v101, s2
	v_add_co_u32 v108, s2, v104, s5
	;; [unrolled: 3-line block ×5, first 2 shown]
	global_load_b128 v[112:115], v[112:113], off
	v_add_co_ci_u32_e64 v133, s2, s4, v125, s2
	s_clause 0x1
	global_load_b128 v[116:119], v[128:129], off offset:64
	global_load_b128 v[120:123], v[128:129], off offset:384
	global_load_b128 v[124:127], v[124:125], off
	global_load_b128 v[128:131], v[128:129], off offset:704
	global_load_b128 v[132:135], v[132:133], off
	s_waitcnt vmcnt(17)
	v_mul_f64 v[136:137], v[66:67], v[2:3]
	v_mul_f64 v[2:3], v[64:65], v[2:3]
	s_waitcnt vmcnt(16)
	v_mul_f64 v[143:144], v[70:71], v[6:7]
	v_mul_f64 v[145:146], v[68:69], v[6:7]
	;; [unrolled: 1-line block ×4, first 2 shown]
	s_waitcnt vmcnt(15)
	v_mul_f64 v[147:148], v[74:75], v[10:11]
	v_mul_f64 v[10:11], v[72:73], v[10:11]
	s_waitcnt vmcnt(14)
	v_mul_f64 v[149:150], v[78:79], v[14:15]
	v_mul_f64 v[14:15], v[76:77], v[14:15]
	;; [unrolled: 3-line block ×6, first 2 shown]
	v_mul_f64 v[141:142], v[62:63], v[26:27]
	v_mul_f64 v[177:178], v[60:61], v[26:27]
	s_waitcnt vmcnt(9)
	v_mul_f64 v[161:162], v[98:99], v[42:43]
	v_mul_f64 v[42:43], v[96:97], v[42:43]
	s_waitcnt vmcnt(8)
	;; [unrolled: 3-line block ×4, first 2 shown]
	v_mul_f64 v[167:168], v[110:111], v[54:55]
	v_mul_f64 v[169:170], v[108:109], v[54:55]
	v_fma_f64 v[64:65], v[64:65], v[0:1], v[136:137]
	v_fma_f64 v[66:67], v[66:67], v[0:1], -v[2:3]
	s_waitcnt vmcnt(4)
	v_mul_f64 v[171:172], v[114:115], v[118:119]
	v_mul_f64 v[118:119], v[112:113], v[118:119]
	s_waitcnt vmcnt(2)
	v_mul_f64 v[173:174], v[126:127], v[122:123]
	v_mul_f64 v[122:123], v[124:125], v[122:123]
	;; [unrolled: 3-line block ×3, first 2 shown]
	v_fma_f64 v[0:1], v[56:57], v[36:37], v[138:139]
	v_fma_f64 v[2:3], v[58:59], v[36:37], -v[38:39]
	v_fma_f64 v[34:35], v[68:69], v[4:5], v[143:144]
	v_fma_f64 v[36:37], v[70:71], v[4:5], -v[145:146]
	;; [unrolled: 2-line block ×12, first 2 shown]
	v_lshlrev_b32_e32 v5, 4, v192
	v_fma_f64 v[50:51], v[108:109], v[52:53], v[167:168]
	v_fma_f64 v[52:53], v[110:111], v[52:53], -v[169:170]
	s_delay_alu instid0(VALU_DEP_3)
	v_lshl_add_u32 v4, v179, 4, v5
	v_add_nc_u32_e32 v5, v5, v255
	v_fma_f64 v[58:59], v[112:113], v[116:117], v[171:172]
	v_fma_f64 v[60:61], v[114:115], v[116:117], -v[118:119]
	v_fma_f64 v[68:69], v[124:125], v[120:121], v[173:174]
	v_fma_f64 v[70:71], v[126:127], v[120:121], -v[122:123]
	;; [unrolled: 2-line block ×3, first 2 shown]
	ds_store_b128 v4, v[64:67]
	ds_store_b128 v5, v[34:37] offset:320
	ds_store_b128 v5, v[54:57] offset:640
	;; [unrolled: 1-line block ×16, first 2 shown]
.LBB0_3:
	s_or_b32 exec_lo, exec_lo, s3
	s_clause 0x1
	s_load_b64 s[4:5], s[0:1], 0x20
	s_load_b64 s[2:3], s[0:1], 0x8
	s_waitcnt lgkmcnt(0)
	s_waitcnt_vscnt null, 0x0
	s_barrier
	buffer_gl0_inv
                                        ; implicit-def: $vgpr28_vgpr29
                                        ; implicit-def: $vgpr48_vgpr49
                                        ; implicit-def: $vgpr52_vgpr53
                                        ; implicit-def: $vgpr56_vgpr57
                                        ; implicit-def: $vgpr60_vgpr61
                                        ; implicit-def: $vgpr64_vgpr65
                                        ; implicit-def: $vgpr68_vgpr69
                                        ; implicit-def: $vgpr72_vgpr73
                                        ; implicit-def: $vgpr80_vgpr81
                                        ; implicit-def: $vgpr84_vgpr85
                                        ; implicit-def: $vgpr88_vgpr89
                                        ; implicit-def: $vgpr92_vgpr93
                                        ; implicit-def: $vgpr76_vgpr77
                                        ; implicit-def: $vgpr44_vgpr45
                                        ; implicit-def: $vgpr40_vgpr41
                                        ; implicit-def: $vgpr36_vgpr37
                                        ; implicit-def: $vgpr32_vgpr33
	s_and_saveexec_b32 s0, vcc_lo
	s_cbranch_execz .LBB0_5
; %bb.4:
	v_lshl_add_u32 v0, v192, 4, v255
	ds_load_b128 v[28:31], v0
	ds_load_b128 v[48:51], v0 offset:320
	ds_load_b128 v[52:55], v0 offset:640
	;; [unrolled: 1-line block ×16, first 2 shown]
.LBB0_5:
	s_or_b32 exec_lo, exec_lo, s0
	s_waitcnt lgkmcnt(0)
	v_add_f64 v[141:142], v[50:51], -v[34:35]
	v_add_f64 v[159:160], v[54:55], -v[38:39]
	s_mov_b32 s10, 0x5d8e7cdc
	s_mov_b32 s18, 0x2a9d6da3
	;; [unrolled: 1-line block ×4, first 2 shown]
	v_add_f64 v[136:137], v[48:49], v[32:33]
	v_add_f64 v[161:162], v[52:53], -v[36:37]
	s_mov_b32 s0, 0x370991
	s_mov_b32 s38, 0x4363dd80
	;; [unrolled: 1-line block ×6, first 2 shown]
	v_add_f64 v[96:97], v[52:53], v[36:37]
	s_mov_b32 s6, 0x75d4884
	s_mov_b32 s7, 0x3fe7a5f6
	v_add_f64 v[171:172], v[48:49], -v[32:33]
	v_add_f64 v[165:166], v[50:51], v[34:35]
	v_add_f64 v[100:101], v[54:55], v[38:39]
	v_add_f64 v[163:164], v[58:59], -v[42:43]
	s_mov_b32 s28, 0x7c9e640b
	s_mov_b32 s29, 0xbfeca52d
	v_add_f64 v[104:105], v[56:57], v[40:41]
	s_mov_b32 s8, 0x2b2883cd
	s_mov_b32 s30, 0xeb564b22
	;; [unrolled: 1-line block ×4, first 2 shown]
	v_add_f64 v[169:170], v[56:57], -v[40:41]
	v_add_f64 v[112:113], v[58:59], v[42:43]
	s_mov_b32 s36, 0x6c9a05f6
	s_mov_b32 s37, 0xbfe9895b
	v_add_f64 v[173:174], v[62:63], -v[46:47]
	v_add_f64 v[108:109], v[60:61], v[44:45]
	s_mov_b32 s16, 0x3259b75e
	s_mov_b32 s17, 0x3fb79ee6
	v_add_f64 v[175:176], v[60:61], -v[44:45]
	v_add_f64 v[120:121], v[62:63], v[46:47]
	v_mul_f64 v[0:1], v[141:142], s[10:11]
	v_mul_f64 v[2:3], v[159:160], s[18:19]
	;; [unrolled: 1-line block ×4, first 2 shown]
	v_add_f64 v[177:178], v[66:67], -v[78:79]
	s_mov_b32 s34, 0x923c349f
	s_mov_b32 s35, 0xbfeec746
	v_mul_f64 v[4:5], v[161:162], s[18:19]
	v_mul_f64 v[20:21], v[161:162], s[48:49]
	v_mul_f64 v[8:9], v[161:162], s[30:31]
	v_mul_f64 v[12:13], v[161:162], s[36:37]
	v_add_f64 v[116:117], v[64:65], v[76:77]
	s_mov_b32 s20, 0xc61f0d01
	s_mov_b32 s42, 0xacd6c6b4
	;; [unrolled: 1-line block ×4, first 2 shown]
	v_add_f64 v[179:180], v[64:65], -v[76:77]
	v_mul_f64 v[14:15], v[159:160], s[42:43]
	v_add_f64 v[128:129], v[66:67], v[78:79]
	v_add_f64 v[185:186], v[70:71], -v[94:95]
	v_mul_f64 v[16:17], v[161:162], s[42:43]
	v_add_f64 v[124:125], v[68:69], v[92:93]
	s_mov_b32 s22, 0x6ed5f1bb
	s_mov_b32 s23, 0xbfe348c8
	v_add_f64 v[181:182], v[68:69], -v[92:93]
	v_mul_f64 v[18:19], v[159:160], s[48:49]
	v_add_f64 v[151:152], v[70:71], v[94:95]
	v_add_f64 v[195:196], v[74:75], -v[90:91]
	v_add_f64 v[132:133], v[72:73], v[88:89]
	s_mov_b32 s24, 0x910ea3b9
	s_mov_b32 s25, 0xbfeb34fa
	;; [unrolled: 1-line block ×4, first 2 shown]
	v_add_f64 v[189:190], v[72:73], -v[88:89]
	v_mul_f64 v[22:23], v[159:160], s[44:45]
	v_add_f64 v[147:148], v[74:75], v[90:91]
	v_add_f64 v[215:216], v[82:83], -v[86:87]
	v_mul_f64 v[24:25], v[161:162], s[44:45]
	v_add_f64 v[143:144], v[80:81], v[84:85]
	s_clause 0x1
	scratch_store_b64 off, v[2:3], off offset:28
	scratch_store_b64 off, v[0:1], off offset:148
	v_fma_f64 v[0:1], v[136:137], s[0:1], v[0:1]
	v_fma_f64 v[2:3], v[96:97], s[6:7], v[2:3]
	s_mov_b32 s26, 0x7faef3
	s_mov_b32 s27, 0xbfef7484
	s_clause 0x1
	scratch_store_b64 off, v[4:5], off offset:44
	scratch_store_b64 off, v[20:21], off offset:492
	v_fma_f64 v[4:5], v[100:101], s[6:7], -v[4:5]
	s_mov_b32 s41, 0x3feca52d
	s_mov_b32 s40, s28
	v_add_f64 v[203:204], v[80:81], -v[84:85]
	v_mul_f64 v[26:27], v[159:160], s[40:41]
	v_add_f64 v[155:156], v[82:83], v[86:87]
	v_mul_f64 v[122:123], v[141:142], s[18:19]
	v_mul_f64 v[126:127], v[171:172], s[18:19]
	s_mov_b32 s47, 0x3fd71e95
	s_mov_b32 s46, s10
	v_mul_f64 v[130:131], v[141:142], s[28:29]
	v_mul_f64 v[134:135], v[171:172], s[28:29]
	s_mov_b32 s53, 0x3fc7851a
	s_mov_b32 s52, s42
	;; [unrolled: 1-line block ×4, first 2 shown]
	v_mul_f64 v[217:218], v[181:182], s[10:11]
	v_mul_f64 v[138:139], v[141:142], s[30:31]
	;; [unrolled: 1-line block ×5, first 2 shown]
	s_mov_b32 s55, 0x3fe9895b
	s_mov_b32 s54, s36
	v_mul_f64 v[149:150], v[141:142], s[34:35]
	v_mul_f64 v[153:154], v[171:172], s[34:35]
	v_fma_f64 v[20:21], v[100:101], s[24:25], -v[20:21]
	v_mul_f64 v[213:214], v[175:176], s[28:29]
	v_mul_f64 v[199:200], v[177:178], s[42:43]
	;; [unrolled: 1-line block ×3, first 2 shown]
	s_mov_b32 s57, 0x3fefdd0d
	s_mov_b32 s56, s30
	v_mul_f64 v[219:220], v[189:190], s[10:11]
	v_add_f64 v[0:1], v[28:29], v[0:1]
	v_mul_f64 v[227:228], v[185:186], s[56:57]
	v_mul_f64 v[253:254], v[181:182], s[56:57]
	;; [unrolled: 1-line block ×25, first 2 shown]
	scratch_store_b64 off, v[6:7], off offset:204 ; 8-byte Folded Spill
	v_fma_f64 v[6:7], v[96:97], s[16:17], v[6:7]
	scratch_store_b64 off, v[8:9], off offset:236 ; 8-byte Folded Spill
	v_fma_f64 v[8:9], v[100:101], s[16:17], -v[8:9]
	scratch_store_b64 off, v[10:11], off offset:244 ; 8-byte Folded Spill
	v_fma_f64 v[10:11], v[96:97], s[22:23], v[10:11]
	scratch_store_b64 off, v[12:13], off offset:316 ; 8-byte Folded Spill
	v_fma_f64 v[12:13], v[100:101], s[22:23], -v[12:13]
	scratch_store_b64 off, v[16:17], off offset:396 ; 8-byte Folded Spill
	v_fma_f64 v[16:17], v[100:101], s[26:27], -v[16:17]
	scratch_store_b64 off, v[14:15], off offset:300 ; 8-byte Folded Spill
	v_fma_f64 v[14:15], v[96:97], s[26:27], v[14:15]
	v_add_f64 v[0:1], v[2:3], v[0:1]
	v_mul_f64 v[2:3], v[171:172], s[10:11]
	scratch_store_b64 off, v[18:19], off offset:356 ; 8-byte Folded Spill
	v_fma_f64 v[18:19], v[96:97], s[24:25], v[18:19]
	scratch_store_b64 off, v[22:23], off offset:436 ; 8-byte Folded Spill
	v_fma_f64 v[22:23], v[96:97], s[20:21], v[22:23]
	scratch_store_b64 off, v[24:25], off offset:604 ; 8-byte Folded Spill
	v_fma_f64 v[24:25], v[100:101], s[20:21], -v[24:25]
	scratch_store_b64 off, v[26:27], off offset:532 ; 8-byte Folded Spill
	v_fma_f64 v[26:27], v[96:97], s[8:9], v[26:27]
	v_fma_f64 v[98:99], v[100:101], s[8:9], -v[211:212]
	scratch_store_b64 off, v[2:3], off offset:196 ; 8-byte Folded Spill
	v_fma_f64 v[2:3], v[165:166], s[0:1], -v[2:3]
	s_delay_alu instid0(VALU_DEP_1) | instskip(NEXT) | instid1(VALU_DEP_1)
	v_add_f64 v[2:3], v[30:31], v[2:3]
	v_add_f64 v[2:3], v[4:5], v[2:3]
	v_mul_f64 v[4:5], v[163:164], s[28:29]
	scratch_store_b64 off, v[4:5], off offset:60 ; 8-byte Folded Spill
	v_fma_f64 v[4:5], v[104:105], s[8:9], v[4:5]
	s_delay_alu instid0(VALU_DEP_1) | instskip(SKIP_3) | instid1(VALU_DEP_1)
	v_add_f64 v[0:1], v[4:5], v[0:1]
	v_mul_f64 v[4:5], v[169:170], s[28:29]
	scratch_store_b64 off, v[4:5], off offset:76 ; 8-byte Folded Spill
	v_fma_f64 v[4:5], v[112:113], s[8:9], -v[4:5]
	v_add_f64 v[2:3], v[4:5], v[2:3]
	v_mul_f64 v[4:5], v[173:174], s[30:31]
	scratch_store_b64 off, v[4:5], off offset:68 ; 8-byte Folded Spill
	v_fma_f64 v[4:5], v[108:109], s[16:17], v[4:5]
	s_delay_alu instid0(VALU_DEP_1) | instskip(SKIP_3) | instid1(VALU_DEP_1)
	v_add_f64 v[0:1], v[4:5], v[0:1]
	v_mul_f64 v[4:5], v[175:176], s[30:31]
	scratch_store_b64 off, v[4:5], off offset:100 ; 8-byte Folded Spill
	v_fma_f64 v[4:5], v[120:121], s[16:17], -v[4:5]
	;; [unrolled: 9-line block ×6, first 2 shown]
	v_add_f64 v[2:3], v[4:5], v[2:3]
	v_fma_f64 v[4:5], v[136:137], s[6:7], v[122:123]
	s_delay_alu instid0(VALU_DEP_1) | instskip(NEXT) | instid1(VALU_DEP_1)
	v_add_f64 v[4:5], v[28:29], v[4:5]
	v_add_f64 v[4:5], v[6:7], v[4:5]
	v_fma_f64 v[6:7], v[165:166], s[6:7], -v[126:127]
	s_delay_alu instid0(VALU_DEP_1) | instskip(NEXT) | instid1(VALU_DEP_1)
	v_add_f64 v[6:7], v[30:31], v[6:7]
	v_add_f64 v[6:7], v[8:9], v[6:7]
	v_mul_f64 v[8:9], v[163:164], s[36:37]
	scratch_store_b64 off, v[8:9], off offset:212 ; 8-byte Folded Spill
	v_fma_f64 v[8:9], v[104:105], s[22:23], v[8:9]
	s_delay_alu instid0(VALU_DEP_1) | instskip(SKIP_3) | instid1(VALU_DEP_1)
	v_add_f64 v[4:5], v[8:9], v[4:5]
	v_mul_f64 v[8:9], v[169:170], s[36:37]
	scratch_store_b64 off, v[8:9], off offset:260 ; 8-byte Folded Spill
	v_fma_f64 v[8:9], v[112:113], s[22:23], -v[8:9]
	v_add_f64 v[6:7], v[8:9], v[6:7]
	v_mul_f64 v[8:9], v[173:174], s[42:43]
	scratch_store_b64 off, v[8:9], off offset:228 ; 8-byte Folded Spill
	v_fma_f64 v[8:9], v[108:109], s[26:27], v[8:9]
	s_delay_alu instid0(VALU_DEP_1) | instskip(SKIP_3) | instid1(VALU_DEP_1)
	v_add_f64 v[4:5], v[8:9], v[4:5]
	v_mul_f64 v[8:9], v[175:176], s[42:43]
	scratch_store_b64 off, v[8:9], off offset:324 ; 8-byte Folded Spill
	v_fma_f64 v[8:9], v[120:121], s[26:27], -v[8:9]
	;; [unrolled: 9-line block ×6, first 2 shown]
	v_add_f64 v[6:7], v[8:9], v[6:7]
	v_fma_f64 v[8:9], v[136:137], s[8:9], v[130:131]
	s_delay_alu instid0(VALU_DEP_1) | instskip(NEXT) | instid1(VALU_DEP_1)
	v_add_f64 v[8:9], v[28:29], v[8:9]
	v_add_f64 v[8:9], v[10:11], v[8:9]
	v_fma_f64 v[10:11], v[165:166], s[8:9], -v[134:135]
	s_delay_alu instid0(VALU_DEP_1) | instskip(NEXT) | instid1(VALU_DEP_1)
	v_add_f64 v[10:11], v[30:31], v[10:11]
	v_add_f64 v[10:11], v[12:13], v[10:11]
	v_mul_f64 v[12:13], v[163:164], s[52:53]
	scratch_store_b64 off, v[12:13], off offset:268 ; 8-byte Folded Spill
	v_fma_f64 v[12:13], v[104:105], s[26:27], v[12:13]
	s_delay_alu instid0(VALU_DEP_1) | instskip(SKIP_3) | instid1(VALU_DEP_1)
	v_add_f64 v[8:9], v[12:13], v[8:9]
	v_mul_f64 v[12:13], v[169:170], s[52:53]
	scratch_store_b64 off, v[12:13], off offset:388 ; 8-byte Folded Spill
	v_fma_f64 v[12:13], v[112:113], s[26:27], -v[12:13]
	v_add_f64 v[10:11], v[12:13], v[10:11]
	v_mul_f64 v[12:13], v[173:174], s[44:45]
	scratch_store_b64 off, v[12:13], off offset:308 ; 8-byte Folded Spill
	v_fma_f64 v[12:13], v[108:109], s[20:21], v[12:13]
	s_delay_alu instid0(VALU_DEP_1) | instskip(SKIP_3) | instid1(VALU_DEP_1)
	v_add_f64 v[8:9], v[12:13], v[8:9]
	v_mul_f64 v[12:13], v[175:176], s[44:45]
	scratch_store_b64 off, v[12:13], off offset:460 ; 8-byte Folded Spill
	v_fma_f64 v[12:13], v[120:121], s[20:21], -v[12:13]
	;; [unrolled: 9-line block ×3, first 2 shown]
	v_add_f64 v[10:11], v[12:13], v[10:11]
	v_mul_f64 v[12:13], v[185:186], s[10:11]
	scratch_store_b64 off, v[12:13], off offset:524 ; 8-byte Folded Spill
	v_fma_f64 v[12:13], v[124:125], s[0:1], v[12:13]
	s_delay_alu instid0(VALU_DEP_1) | instskip(SKIP_1) | instid1(VALU_DEP_1)
	v_add_f64 v[8:9], v[12:13], v[8:9]
	v_fma_f64 v[12:13], v[151:152], s[0:1], -v[217:218]
	v_add_f64 v[10:11], v[12:13], v[10:11]
	v_mul_f64 v[12:13], v[195:196], s[30:31]
	scratch_store_b64 off, v[12:13], off offset:412 ; 8-byte Folded Spill
	v_fma_f64 v[12:13], v[132:133], s[16:17], v[12:13]
	s_delay_alu instid0(VALU_DEP_1) | instskip(SKIP_3) | instid1(VALU_DEP_1)
	v_add_f64 v[8:9], v[12:13], v[8:9]
	v_mul_f64 v[12:13], v[189:190], s[30:31]
	scratch_store_b64 off, v[12:13], off offset:468 ; 8-byte Folded Spill
	v_fma_f64 v[12:13], v[147:148], s[16:17], -v[12:13]
	v_add_f64 v[10:11], v[12:13], v[10:11]
	v_mul_f64 v[12:13], v[215:216], s[38:39]
	scratch_store_b64 off, v[12:13], off offset:380 ; 8-byte Folded Spill
	v_fma_f64 v[12:13], v[143:144], s[24:25], v[12:13]
	s_delay_alu instid0(VALU_DEP_1) | instskip(SKIP_3) | instid1(VALU_DEP_1)
	v_add_f64 v[8:9], v[12:13], v[8:9]
	v_mul_f64 v[12:13], v[203:204], s[38:39]
	scratch_store_b64 off, v[12:13], off offset:452 ; 8-byte Folded Spill
	v_fma_f64 v[12:13], v[155:156], s[24:25], -v[12:13]
	v_add_f64 v[10:11], v[12:13], v[10:11]
	v_fma_f64 v[12:13], v[136:137], s[16:17], v[138:139]
	s_delay_alu instid0(VALU_DEP_1) | instskip(NEXT) | instid1(VALU_DEP_1)
	v_add_f64 v[12:13], v[28:29], v[12:13]
	v_add_f64 v[12:13], v[14:15], v[12:13]
	v_fma_f64 v[14:15], v[165:166], s[16:17], -v[145:146]
	s_delay_alu instid0(VALU_DEP_1) | instskip(NEXT) | instid1(VALU_DEP_1)
	v_add_f64 v[14:15], v[30:31], v[14:15]
	v_add_f64 v[14:15], v[16:17], v[14:15]
	v_mul_f64 v[16:17], v[163:164], s[44:45]
	scratch_store_b64 off, v[16:17], off offset:340 ; 8-byte Folded Spill
	v_fma_f64 v[16:17], v[104:105], s[20:21], v[16:17]
	s_delay_alu instid0(VALU_DEP_1) | instskip(SKIP_3) | instid1(VALU_DEP_1)
	v_add_f64 v[12:13], v[16:17], v[12:13]
	v_mul_f64 v[16:17], v[169:170], s[44:45]
	scratch_store_b64 off, v[16:17], off offset:484 ; 8-byte Folded Spill
	v_fma_f64 v[16:17], v[112:113], s[20:21], -v[16:17]
	v_add_f64 v[14:15], v[16:17], v[14:15]
	v_mul_f64 v[16:17], v[173:174], s[46:47]
	scratch_store_b64 off, v[16:17], off offset:364 ; 8-byte Folded Spill
	v_fma_f64 v[16:17], v[108:109], s[0:1], v[16:17]
	s_delay_alu instid0(VALU_DEP_1) | instskip(SKIP_3) | instid1(VALU_DEP_1)
	v_add_f64 v[12:13], v[16:17], v[12:13]
	v_mul_f64 v[16:17], v[175:176], s[46:47]
	scratch_store_b64 off, v[16:17], off offset:564 ; 8-byte Folded Spill
	v_fma_f64 v[16:17], v[120:121], s[0:1], -v[16:17]
	v_add_f64 v[14:15], v[16:17], v[14:15]
	v_mul_f64 v[16:17], v[177:178], s[28:29]
	scratch_store_b64 off, v[16:17], off offset:516 ; 8-byte Folded Spill
	v_fma_f64 v[16:17], v[116:117], s[8:9], v[16:17]
	s_delay_alu instid0(VALU_DEP_1) | instskip(SKIP_1) | instid1(VALU_DEP_1)
	v_add_f64 v[12:13], v[16:17], v[12:13]
	v_fma_f64 v[16:17], v[128:129], s[8:9], -v[207:208]
	v_add_f64 v[14:15], v[16:17], v[14:15]
	v_mul_f64 v[16:17], v[185:186], s[38:39]
	scratch_store_b64 off, v[16:17], off offset:620 ; 8-byte Folded Spill
	v_fma_f64 v[16:17], v[124:125], s[24:25], v[16:17]
	s_delay_alu instid0(VALU_DEP_1) | instskip(SKIP_1) | instid1(VALU_DEP_1)
	v_add_f64 v[12:13], v[16:17], v[12:13]
	v_fma_f64 v[16:17], v[151:152], s[24:25], -v[233:234]
	v_add_f64 v[14:15], v[16:17], v[14:15]
	v_mul_f64 v[16:17], v[195:196], s[54:55]
	scratch_store_b64 off, v[16:17], off offset:500 ; 8-byte Folded Spill
	v_fma_f64 v[16:17], v[132:133], s[22:23], v[16:17]
	s_delay_alu instid0(VALU_DEP_1) | instskip(SKIP_3) | instid1(VALU_DEP_1)
	v_add_f64 v[12:13], v[16:17], v[12:13]
	v_mul_f64 v[16:17], v[189:190], s[54:55]
	scratch_store_b64 off, v[16:17], off offset:572 ; 8-byte Folded Spill
	v_fma_f64 v[16:17], v[147:148], s[22:23], -v[16:17]
	v_add_f64 v[14:15], v[16:17], v[14:15]
	v_mul_f64 v[16:17], v[215:216], s[50:51]
	scratch_store_b64 off, v[16:17], off offset:476 ; 8-byte Folded Spill
	v_fma_f64 v[16:17], v[143:144], s[6:7], v[16:17]
	s_delay_alu instid0(VALU_DEP_1) | instskip(SKIP_3) | instid1(VALU_DEP_1)
	v_add_f64 v[12:13], v[16:17], v[12:13]
	v_mul_f64 v[16:17], v[203:204], s[50:51]
	scratch_store_b64 off, v[16:17], off offset:556 ; 8-byte Folded Spill
	v_fma_f64 v[16:17], v[155:156], s[6:7], -v[16:17]
	v_add_f64 v[14:15], v[16:17], v[14:15]
	v_fma_f64 v[16:17], v[136:137], s[20:21], v[149:150]
	s_delay_alu instid0(VALU_DEP_1) | instskip(NEXT) | instid1(VALU_DEP_1)
	v_add_f64 v[16:17], v[28:29], v[16:17]
	v_add_f64 v[16:17], v[18:19], v[16:17]
	v_fma_f64 v[18:19], v[165:166], s[20:21], -v[153:154]
	s_delay_alu instid0(VALU_DEP_1) | instskip(NEXT) | instid1(VALU_DEP_1)
	v_add_f64 v[18:19], v[30:31], v[18:19]
	v_add_f64 v[18:19], v[20:21], v[18:19]
	v_mul_f64 v[20:21], v[163:164], s[50:51]
	scratch_store_b64 off, v[20:21], off offset:420 ; 8-byte Folded Spill
	v_fma_f64 v[20:21], v[104:105], s[6:7], v[20:21]
	s_delay_alu instid0(VALU_DEP_1) | instskip(SKIP_3) | instid1(VALU_DEP_1)
	v_add_f64 v[16:17], v[20:21], v[16:17]
	v_mul_f64 v[20:21], v[169:170], s[50:51]
	scratch_store_b64 off, v[20:21], off offset:588 ; 8-byte Folded Spill
	v_fma_f64 v[20:21], v[112:113], s[6:7], -v[20:21]
	v_add_f64 v[18:19], v[20:21], v[18:19]
	v_mul_f64 v[20:21], v[173:174], s[28:29]
	scratch_store_b64 off, v[20:21], off offset:444 ; 8-byte Folded Spill
	v_fma_f64 v[20:21], v[108:109], s[8:9], v[20:21]
	s_delay_alu instid0(VALU_DEP_1) | instskip(SKIP_1) | instid1(VALU_DEP_1)
	v_add_f64 v[16:17], v[20:21], v[16:17]
	v_fma_f64 v[20:21], v[120:121], s[8:9], -v[213:214]
	v_add_f64 v[18:19], v[20:21], v[18:19]
	v_fma_f64 v[20:21], v[116:117], s[26:27], v[199:200]
	s_delay_alu instid0(VALU_DEP_1) | instskip(SKIP_1) | instid1(VALU_DEP_1)
	v_add_f64 v[16:17], v[20:21], v[16:17]
	v_fma_f64 v[20:21], v[128:129], s[26:27], -v[241:242]
	v_add_f64 v[18:19], v[20:21], v[18:19]
	;; [unrolled: 5-line block ×3, first 2 shown]
	v_mul_f64 v[20:21], v[195:196], s[10:11]
	scratch_store_b64 off, v[20:21], off offset:612 ; 8-byte Folded Spill
	v_fma_f64 v[20:21], v[132:133], s[0:1], v[20:21]
	s_delay_alu instid0(VALU_DEP_1) | instskip(SKIP_1) | instid1(VALU_DEP_1)
	v_add_f64 v[16:17], v[20:21], v[16:17]
	v_fma_f64 v[20:21], v[147:148], s[0:1], -v[219:220]
	v_add_f64 v[18:19], v[20:21], v[18:19]
	v_mul_f64 v[20:21], v[215:216], s[36:37]
	scratch_store_b64 off, v[20:21], off offset:580 ; 8-byte Folded Spill
	v_fma_f64 v[20:21], v[143:144], s[22:23], v[20:21]
	s_delay_alu instid0(VALU_DEP_1) | instskip(SKIP_1) | instid1(VALU_DEP_1)
	v_add_f64 v[16:17], v[20:21], v[16:17]
	v_fma_f64 v[20:21], v[155:156], s[22:23], -v[209:210]
	v_add_f64 v[18:19], v[20:21], v[18:19]
	v_fma_f64 v[20:21], v[136:137], s[22:23], v[157:158]
	s_delay_alu instid0(VALU_DEP_1) | instskip(NEXT) | instid1(VALU_DEP_1)
	v_add_f64 v[20:21], v[28:29], v[20:21]
	v_add_f64 v[20:21], v[22:23], v[20:21]
	v_fma_f64 v[22:23], v[165:166], s[22:23], -v[167:168]
	s_delay_alu instid0(VALU_DEP_1) | instskip(NEXT) | instid1(VALU_DEP_1)
	v_add_f64 v[22:23], v[30:31], v[22:23]
	v_add_f64 v[22:23], v[24:25], v[22:23]
	v_mul_f64 v[24:25], v[163:164], s[10:11]
	scratch_store_b64 off, v[24:25], off offset:540 ; 8-byte Folded Spill
	v_fma_f64 v[24:25], v[104:105], s[0:1], v[24:25]
	s_delay_alu instid0(VALU_DEP_1) | instskip(SKIP_1) | instid1(VALU_DEP_1)
	v_add_f64 v[20:21], v[24:25], v[20:21]
	v_fma_f64 v[24:25], v[112:113], s[0:1], -v[223:224]
	v_add_f64 v[22:23], v[24:25], v[22:23]
	v_mul_f64 v[24:25], v[173:174], s[38:39]
	scratch_store_b64 off, v[24:25], off offset:548 ; 8-byte Folded Spill
	v_fma_f64 v[24:25], v[108:109], s[24:25], v[24:25]
	s_waitcnt_vscnt null, 0x0
	s_barrier
	buffer_gl0_inv
	v_add_f64 v[20:21], v[24:25], v[20:21]
	v_fma_f64 v[24:25], v[120:121], s[24:25], -v[243:244]
	s_delay_alu instid0(VALU_DEP_1) | instskip(SKIP_1) | instid1(VALU_DEP_1)
	v_add_f64 v[22:23], v[24:25], v[22:23]
	v_fma_f64 v[24:25], v[116:117], s[16:17], v[225:226]
	v_add_f64 v[20:21], v[24:25], v[20:21]
	v_fma_f64 v[24:25], v[128:129], s[16:17], -v[102:103]
	s_delay_alu instid0(VALU_DEP_1) | instskip(SKIP_1) | instid1(VALU_DEP_1)
	v_add_f64 v[22:23], v[24:25], v[22:23]
	v_fma_f64 v[24:25], v[124:125], s[6:7], v[247:248]
	;; [unrolled: 5-line block ×5, first 2 shown]
	v_add_f64 v[24:25], v[28:29], v[24:25]
	s_delay_alu instid0(VALU_DEP_1) | instskip(SKIP_1) | instid1(VALU_DEP_1)
	v_add_f64 v[24:25], v[26:27], v[24:25]
	v_fma_f64 v[26:27], v[165:166], s[24:25], -v[187:188]
	v_add_f64 v[26:27], v[30:31], v[26:27]
	s_delay_alu instid0(VALU_DEP_1) | instskip(SKIP_1) | instid1(VALU_DEP_1)
	v_add_f64 v[26:27], v[98:99], v[26:27]
	v_fma_f64 v[98:99], v[104:105], s[16:17], v[197:198]
	v_add_f64 v[24:25], v[98:99], v[24:25]
	v_fma_f64 v[98:99], v[112:113], s[16:17], -v[239:240]
	s_delay_alu instid0(VALU_DEP_1) | instskip(SKIP_1) | instid1(VALU_DEP_1)
	v_add_f64 v[26:27], v[98:99], v[26:27]
	v_fma_f64 v[98:99], v[108:109], s[22:23], v[201:202]
	v_add_f64 v[24:25], v[98:99], v[24:25]
	v_mul_f64 v[98:99], v[175:176], s[54:55]
	s_delay_alu instid0(VALU_DEP_1) | instskip(NEXT) | instid1(VALU_DEP_1)
	v_fma_f64 v[106:107], v[120:121], s[22:23], -v[98:99]
	v_add_f64 v[26:27], v[106:107], v[26:27]
	v_fma_f64 v[106:107], v[116:117], s[0:1], v[245:246]
	s_delay_alu instid0(VALU_DEP_1) | instskip(SKIP_1) | instid1(VALU_DEP_1)
	v_add_f64 v[24:25], v[106:107], v[24:25]
	v_fma_f64 v[106:107], v[128:129], s[0:1], -v[110:111]
	v_add_f64 v[26:27], v[106:107], v[26:27]
	v_mul_f64 v[106:107], v[185:186], s[42:43]
	s_delay_alu instid0(VALU_DEP_1) | instskip(NEXT) | instid1(VALU_DEP_1)
	v_fma_f64 v[118:119], v[124:125], s[26:27], v[106:107]
	v_add_f64 v[24:25], v[118:119], v[24:25]
	v_mul_f64 v[118:119], v[181:182], s[42:43]
	s_delay_alu instid0(VALU_DEP_1) | instskip(NEXT) | instid1(VALU_DEP_1)
	v_fma_f64 v[229:230], v[151:152], s[26:27], -v[118:119]
	v_add_f64 v[26:27], v[229:230], v[26:27]
	v_fma_f64 v[229:230], v[132:133], s[6:7], v[237:238]
	s_delay_alu instid0(VALU_DEP_1) | instskip(SKIP_1) | instid1(VALU_DEP_1)
	v_add_f64 v[24:25], v[229:230], v[24:25]
	v_fma_f64 v[229:230], v[147:148], s[6:7], -v[251:252]
	v_add_f64 v[26:27], v[229:230], v[26:27]
	v_mul_f64 v[229:230], v[215:216], s[34:35]
	s_delay_alu instid0(VALU_DEP_1) | instskip(NEXT) | instid1(VALU_DEP_1)
	v_fma_f64 v[249:250], v[143:144], s[20:21], v[229:230]
	v_add_f64 v[24:25], v[249:250], v[24:25]
	v_mul_f64 v[249:250], v[203:204], s[34:35]
	s_delay_alu instid0(VALU_DEP_1) | instskip(NEXT) | instid1(VALU_DEP_1)
	v_fma_f64 v[193:194], v[155:156], s[20:21], -v[249:250]
	v_add_f64 v[26:27], v[193:194], v[26:27]
	scratch_load_b32 v193, off, off         ; 4-byte Folded Reload
	s_waitcnt vmcnt(0)
	v_mul_lo_u16 v193, v193, 17
	scratch_store_b32 off, v193, off offset:16 ; 4-byte Folded Spill
	s_and_saveexec_b32 s33, vcc_lo
	s_cbranch_execz .LBB0_7
; %bb.6:
	v_add_f64 v[48:49], v[28:29], v[48:49]
	v_add_f64 v[50:51], v[30:31], v[50:51]
	s_delay_alu instid0(VALU_DEP_2) | instskip(NEXT) | instid1(VALU_DEP_2)
	v_add_f64 v[48:49], v[48:49], v[52:53]
	v_add_f64 v[50:51], v[50:51], v[54:55]
	v_mul_f64 v[52:53], v[165:166], s[16:17]
	v_mul_f64 v[54:55], v[136:137], s[16:17]
	s_delay_alu instid0(VALU_DEP_4) | instskip(NEXT) | instid1(VALU_DEP_4)
	v_add_f64 v[48:49], v[48:49], v[56:57]
	v_add_f64 v[50:51], v[50:51], v[58:59]
	s_delay_alu instid0(VALU_DEP_4)
	v_add_f64 v[52:53], v[145:146], v[52:53]
	v_mul_f64 v[58:59], v[136:137], s[8:9]
	v_add_f64 v[54:55], v[54:55], -v[138:139]
	v_mul_f64 v[56:57], v[165:166], s[8:9]
	v_add_f64 v[48:49], v[48:49], v[60:61]
	v_add_f64 v[50:51], v[50:51], v[62:63]
	v_mul_f64 v[62:63], v[136:137], s[6:7]
	v_add_f64 v[58:59], v[58:59], -v[130:131]
	v_mul_f64 v[60:61], v[165:166], s[6:7]
	v_add_f64 v[56:57], v[134:135], v[56:57]
	v_add_f64 v[48:49], v[48:49], v[64:65]
	;; [unrolled: 1-line block ×3, first 2 shown]
	scratch_load_b64 v[66:67], off, off offset:196 ; 8-byte Folded Reload
	v_mul_f64 v[64:65], v[165:166], s[0:1]
	v_add_f64 v[62:63], v[62:63], -v[122:123]
	v_add_f64 v[60:61], v[126:127], v[60:61]
	v_mul_f64 v[122:123], v[155:156], s[16:17]
	v_add_f64 v[48:49], v[48:49], v[68:69]
	v_add_f64 v[50:51], v[50:51], v[70:71]
	v_mul_f64 v[70:71], v[136:137], s[0:1]
	s_delay_alu instid0(VALU_DEP_3) | instskip(SKIP_3) | instid1(VALU_DEP_2)
	v_add_f64 v[48:49], v[48:49], v[72:73]
	scratch_load_b64 v[72:73], off, off offset:148 ; 8-byte Folded Reload
	v_add_f64 v[50:51], v[50:51], v[74:75]
	v_add_f64 v[48:49], v[48:49], v[80:81]
	;; [unrolled: 1-line block ×3, first 2 shown]
	s_delay_alu instid0(VALU_DEP_2) | instskip(NEXT) | instid1(VALU_DEP_2)
	v_add_f64 v[48:49], v[48:49], v[84:85]
	v_add_f64 v[50:51], v[50:51], v[86:87]
	s_delay_alu instid0(VALU_DEP_2) | instskip(NEXT) | instid1(VALU_DEP_2)
	v_add_f64 v[48:49], v[48:49], v[88:89]
	v_add_f64 v[50:51], v[50:51], v[90:91]
	s_delay_alu instid0(VALU_DEP_2) | instskip(NEXT) | instid1(VALU_DEP_2)
	v_add_f64 v[48:49], v[48:49], v[92:93]
	v_add_f64 v[50:51], v[50:51], v[94:95]
	v_mul_f64 v[94:95], v[215:216], s[56:57]
	s_delay_alu instid0(VALU_DEP_3) | instskip(NEXT) | instid1(VALU_DEP_3)
	v_add_f64 v[48:49], v[48:49], v[76:77]
	v_add_f64 v[50:51], v[50:51], v[78:79]
	s_delay_alu instid0(VALU_DEP_2) | instskip(SKIP_1) | instid1(VALU_DEP_3)
	v_add_f64 v[44:45], v[48:49], v[44:45]
	v_mul_f64 v[48:49], v[165:166], s[20:21]
	v_add_f64 v[46:47], v[50:51], v[46:47]
	v_mul_f64 v[50:51], v[136:137], s[20:21]
	s_waitcnt vmcnt(1)
	v_add_f64 v[64:65], v[66:67], v[64:65]
	v_mul_f64 v[66:67], v[141:142], s[42:43]
	v_add_f64 v[40:41], v[44:45], v[40:41]
	v_add_f64 v[48:49], v[153:154], v[48:49]
	;; [unrolled: 1-line block ×3, first 2 shown]
	v_mul_f64 v[46:47], v[136:137], s[22:23]
	v_mul_f64 v[44:45], v[165:166], s[22:23]
	v_add_f64 v[50:51], v[50:51], -v[149:150]
	v_add_f64 v[64:65], v[30:31], v[64:65]
	v_fma_f64 v[68:69], v[136:137], s[26:27], v[66:67]
	v_fma_f64 v[66:67], v[136:137], s[26:27], -v[66:67]
	v_add_f64 v[36:37], v[40:41], v[36:37]
	v_add_f64 v[80:81], v[30:31], v[48:49]
	;; [unrolled: 1-line block ×3, first 2 shown]
	v_mul_f64 v[42:43], v[136:137], s[24:25]
	v_add_f64 v[46:47], v[46:47], -v[157:158]
	v_add_f64 v[48:49], v[30:31], v[52:53]
	v_mul_f64 v[52:53], v[100:101], s[0:1]
	v_mul_f64 v[40:41], v[165:166], s[24:25]
	v_add_f64 v[44:45], v[167:168], v[44:45]
	v_add_f64 v[82:83], v[28:29], v[50:51]
	;; [unrolled: 1-line block ×3, first 2 shown]
	v_mul_f64 v[54:55], v[112:113], s[24:25]
	s_waitcnt vmcnt(0)
	v_add_f64 v[70:71], v[70:71], -v[72:73]
	v_add_f64 v[68:69], v[28:29], v[68:69]
	v_add_f64 v[66:67], v[28:29], v[66:67]
	;; [unrolled: 1-line block ×3, first 2 shown]
	v_mul_f64 v[36:37], v[165:166], s[26:27]
	v_add_f64 v[34:35], v[38:39], v[34:35]
	v_add_f64 v[42:43], v[42:43], -v[183:184]
	v_add_f64 v[78:79], v[28:29], v[46:47]
	v_add_f64 v[46:47], v[28:29], v[58:59]
	;; [unrolled: 1-line block ×5, first 2 shown]
	v_fma_f64 v[56:57], v[169:170], s[48:49], v[54:55]
	v_fma_f64 v[54:55], v[169:170], s[38:39], v[54:55]
	v_add_f64 v[70:71], v[28:29], v[70:71]
	v_fma_f64 v[38:39], v[171:172], s[52:53], v[36:37]
	v_fma_f64 v[36:37], v[171:172], s[42:43], v[36:37]
	v_add_f64 v[74:75], v[28:29], v[42:43]
	v_add_f64 v[42:43], v[28:29], v[62:63]
	v_fma_f64 v[28:29], v[161:162], s[10:11], v[52:53]
	v_fma_f64 v[52:53], v[161:162], s[46:47], v[52:53]
	v_add_f64 v[72:73], v[30:31], v[40:41]
	v_add_f64 v[40:41], v[30:31], v[60:61]
	;; [unrolled: 1-line block ×4, first 2 shown]
	s_delay_alu instid0(VALU_DEP_2) | instskip(SKIP_1) | instid1(VALU_DEP_3)
	v_add_f64 v[28:29], v[28:29], v[38:39]
	v_mul_f64 v[38:39], v[159:160], s[46:47]
	v_add_f64 v[36:37], v[52:53], v[36:37]
	s_delay_alu instid0(VALU_DEP_3) | instskip(NEXT) | instid1(VALU_DEP_3)
	v_add_f64 v[28:29], v[56:57], v[28:29]
	v_fma_f64 v[30:31], v[96:97], s[0:1], v[38:39]
	v_mul_f64 v[56:57], v[163:164], s[38:39]
	v_fma_f64 v[38:39], v[96:97], s[0:1], -v[38:39]
	v_add_f64 v[36:37], v[54:55], v[36:37]
	v_fma_f64 v[54:55], v[143:144], s[16:17], -v[94:95]
	v_add_f64 v[30:31], v[30:31], v[68:69]
	v_fma_f64 v[58:59], v[104:105], s[24:25], v[56:57]
	v_add_f64 v[38:39], v[38:39], v[66:67]
	v_fma_f64 v[52:53], v[104:105], s[24:25], -v[56:57]
	s_clause 0x1
	scratch_load_b64 v[56:57], off, off offset:404
	scratch_load_b64 v[66:67], off, off offset:372
	v_add_f64 v[30:31], v[58:59], v[30:31]
	v_mul_f64 v[58:59], v[120:121], s[6:7]
	v_add_f64 v[38:39], v[52:53], v[38:39]
	s_delay_alu instid0(VALU_DEP_2) | instskip(SKIP_1) | instid1(VALU_DEP_2)
	v_fma_f64 v[60:61], v[175:176], s[18:19], v[58:59]
	v_fma_f64 v[58:59], v[175:176], s[50:51], v[58:59]
	v_add_f64 v[28:29], v[60:61], v[28:29]
	v_mul_f64 v[60:61], v[173:174], s[50:51]
	s_delay_alu instid0(VALU_DEP_3)
	v_add_f64 v[36:37], v[58:59], v[36:37]
	scratch_load_b64 v[58:59], off, off offset:324 ; 8-byte Folded Reload
	v_fma_f64 v[62:63], v[108:109], s[6:7], v[60:61]
	v_fma_f64 v[52:53], v[108:109], s[6:7], -v[60:61]
	scratch_load_b64 v[60:61], off, off offset:260 ; 8-byte Folded Reload
	v_add_f64 v[30:31], v[62:63], v[30:31]
	v_mul_f64 v[62:63], v[128:129], s[22:23]
	v_add_f64 v[38:39], v[52:53], v[38:39]
	s_delay_alu instid0(VALU_DEP_2) | instskip(SKIP_1) | instid1(VALU_DEP_2)
	v_fma_f64 v[68:69], v[179:180], s[54:55], v[62:63]
	v_fma_f64 v[62:63], v[179:180], s[36:37], v[62:63]
	v_add_f64 v[28:29], v[68:69], v[28:29]
	v_mul_f64 v[68:69], v[177:178], s[36:37]
	s_delay_alu instid0(VALU_DEP_3)
	v_add_f64 v[36:37], v[62:63], v[36:37]
	scratch_load_b64 v[62:63], off, off offset:236 ; 8-byte Folded Reload
	v_fma_f64 v[84:85], v[116:117], s[22:23], v[68:69]
	v_fma_f64 v[52:53], v[116:117], s[22:23], -v[68:69]
	scratch_load_b64 v[68:69], off, off offset:276 ; 8-byte Folded Reload
	;; [unrolled: 14-line block ×3, first 2 shown]
	v_add_f64 v[30:31], v[88:89], v[30:31]
	v_mul_f64 v[88:89], v[147:148], s[20:21]
	v_add_f64 v[38:39], v[52:53], v[38:39]
	s_delay_alu instid0(VALU_DEP_2) | instskip(SKIP_1) | instid1(VALU_DEP_2)
	v_fma_f64 v[90:91], v[189:190], s[44:45], v[88:89]
	v_fma_f64 v[88:89], v[189:190], s[34:35], v[88:89]
	v_add_f64 v[28:29], v[90:91], v[28:29]
	v_mul_f64 v[90:91], v[195:196], s[34:35]
	s_delay_alu instid0(VALU_DEP_3) | instskip(NEXT) | instid1(VALU_DEP_2)
	v_add_f64 v[36:37], v[88:89], v[36:37]
	v_fma_f64 v[92:93], v[132:133], s[20:21], v[90:91]
	v_fma_f64 v[52:53], v[132:133], s[20:21], -v[90:91]
	s_delay_alu instid0(VALU_DEP_2) | instskip(SKIP_1) | instid1(VALU_DEP_3)
	v_add_f64 v[92:93], v[92:93], v[30:31]
	v_fma_f64 v[30:31], v[203:204], s[30:31], v[122:123]
	v_add_f64 v[52:53], v[52:53], v[38:39]
	s_delay_alu instid0(VALU_DEP_2) | instskip(SKIP_1) | instid1(VALU_DEP_1)
	v_add_f64 v[30:31], v[30:31], v[28:29]
	v_fma_f64 v[28:29], v[143:144], s[16:17], v[94:95]
	v_add_f64 v[28:29], v[28:29], v[92:93]
	v_fma_f64 v[92:93], v[203:204], s[56:57], v[122:123]
	s_delay_alu instid0(VALU_DEP_1) | instskip(SKIP_4) | instid1(VALU_DEP_1)
	v_add_f64 v[38:39], v[92:93], v[36:37]
	v_add_f64 v[36:37], v[54:55], v[52:53]
	scratch_load_b64 v[54:55], off, off offset:508 ; 8-byte Folded Reload
	v_mul_f64 v[52:53], v[151:152], s[20:21]
	s_waitcnt vmcnt(0)
	v_add_f64 v[52:53], v[54:55], v[52:53]
	v_mul_f64 v[54:55], v[128:129], s[24:25]
	s_delay_alu instid0(VALU_DEP_1) | instskip(SKIP_1) | instid1(VALU_DEP_1)
	v_add_f64 v[54:55], v[56:57], v[54:55]
	v_mul_f64 v[56:57], v[120:121], s[26:27]
	v_add_f64 v[56:57], v[58:59], v[56:57]
	v_mul_f64 v[58:59], v[112:113], s[22:23]
	s_delay_alu instid0(VALU_DEP_1) | instskip(SKIP_1) | instid1(VALU_DEP_1)
	v_add_f64 v[58:59], v[60:61], v[58:59]
	v_mul_f64 v[60:61], v[100:101], s[16:17]
	v_add_f64 v[60:61], v[62:63], v[60:61]
	v_mul_f64 v[62:63], v[124:125], s[20:21]
	s_delay_alu instid0(VALU_DEP_2) | instskip(NEXT) | instid1(VALU_DEP_2)
	v_add_f64 v[40:41], v[60:61], v[40:41]
	v_add_f64 v[62:63], v[62:63], -v[66:67]
	v_mul_f64 v[66:67], v[116:117], s[24:25]
	v_mul_f64 v[60:61], v[108:109], s[26:27]
	s_delay_alu instid0(VALU_DEP_4) | instskip(SKIP_1) | instid1(VALU_DEP_4)
	v_add_f64 v[40:41], v[58:59], v[40:41]
	v_mul_f64 v[58:59], v[147:148], s[8:9]
	v_add_f64 v[66:67], v[66:67], -v[68:69]
	v_mul_f64 v[68:69], v[96:97], s[16:17]
	s_delay_alu instid0(VALU_DEP_4) | instskip(SKIP_1) | instid1(VALU_DEP_3)
	v_add_f64 v[40:41], v[56:57], v[40:41]
	v_mul_f64 v[56:57], v[132:133], s[8:9]
	v_add_f64 v[68:69], v[68:69], -v[84:85]
	v_mul_f64 v[84:85], v[104:105], s[22:23]
	s_delay_alu instid0(VALU_DEP_4) | instskip(SKIP_1) | instid1(VALU_DEP_4)
	v_add_f64 v[40:41], v[54:55], v[40:41]
	v_mul_f64 v[54:55], v[155:156], s[0:1]
	v_add_f64 v[42:43], v[68:69], v[42:43]
	scratch_load_b64 v[68:69], off, off offset:228 ; 8-byte Folded Reload
	v_add_f64 v[84:85], v[84:85], -v[86:87]
	scratch_load_b64 v[86:87], off, off offset:268 ; 8-byte Folded Reload
	v_add_f64 v[40:41], v[52:53], v[40:41]
	v_mul_f64 v[52:53], v[143:144], s[0:1]
	v_add_f64 v[42:43], v[84:85], v[42:43]
	scratch_load_b64 v[84:85], off, off offset:244 ; 8-byte Folded Reload
	s_waitcnt vmcnt(2)
	v_add_f64 v[60:61], v[60:61], -v[68:69]
	scratch_load_b64 v[68:69], off, off offset:332 ; 8-byte Folded Reload
	v_add_f64 v[42:43], v[60:61], v[42:43]
	scratch_load_b64 v[60:61], off, off offset:284 ; 8-byte Folded Reload
	v_add_f64 v[42:43], v[66:67], v[42:43]
	;; [unrolled: 2-line block ×3, first 2 shown]
	scratch_load_b64 v[62:63], off, off offset:316 ; 8-byte Folded Reload
	s_waitcnt vmcnt(2)
	v_add_f64 v[56:57], v[56:57], -v[60:61]
	scratch_load_b64 v[60:61], off, off offset:348 ; 8-byte Folded Reload
	v_add_f64 v[56:57], v[56:57], v[42:43]
	s_waitcnt vmcnt(0)
	v_add_f64 v[54:55], v[60:61], v[54:55]
	scratch_load_b64 v[60:61], off, off offset:292 ; 8-byte Folded Reload
	v_add_f64 v[58:59], v[68:69], v[58:59]
	scratch_load_b64 v[68:69], off, off offset:428 ; 8-byte Folded Reload
	v_add_f64 v[40:41], v[58:59], v[40:41]
	scratch_load_b64 v[58:59], off, off offset:460 ; 8-byte Folded Reload
	v_add_f64 v[42:43], v[54:55], v[40:41]
	v_mul_f64 v[54:55], v[128:129], s[6:7]
	s_waitcnt vmcnt(2)
	v_add_f64 v[52:53], v[52:53], -v[60:61]
	scratch_load_b64 v[60:61], off, off offset:388 ; 8-byte Folded Reload
	v_add_f64 v[40:41], v[52:53], v[56:57]
	scratch_load_b64 v[56:57], off, off offset:596 ; 8-byte Folded Reload
	v_mul_f64 v[52:53], v[151:152], s[0:1]
	s_delay_alu instid0(VALU_DEP_1) | instskip(SKIP_3) | instid1(VALU_DEP_1)
	v_add_f64 v[52:53], v[217:218], v[52:53]
	s_waitcnt vmcnt(0)
	v_add_f64 v[54:55], v[56:57], v[54:55]
	v_mul_f64 v[56:57], v[120:121], s[20:21]
	v_add_f64 v[56:57], v[58:59], v[56:57]
	v_mul_f64 v[58:59], v[112:113], s[26:27]
	s_delay_alu instid0(VALU_DEP_1) | instskip(SKIP_1) | instid1(VALU_DEP_1)
	v_add_f64 v[58:59], v[60:61], v[58:59]
	v_mul_f64 v[60:61], v[100:101], s[22:23]
	v_add_f64 v[60:61], v[62:63], v[60:61]
	v_mul_f64 v[62:63], v[124:125], s[0:1]
	s_delay_alu instid0(VALU_DEP_2) | instskip(NEXT) | instid1(VALU_DEP_2)
	v_add_f64 v[44:45], v[60:61], v[44:45]
	v_add_f64 v[62:63], v[62:63], -v[66:67]
	v_mul_f64 v[66:67], v[116:117], s[6:7]
	v_mul_f64 v[60:61], v[108:109], s[20:21]
	s_delay_alu instid0(VALU_DEP_4) | instskip(SKIP_1) | instid1(VALU_DEP_4)
	v_add_f64 v[44:45], v[58:59], v[44:45]
	v_mul_f64 v[58:59], v[147:148], s[16:17]
	v_add_f64 v[66:67], v[66:67], -v[68:69]
	v_mul_f64 v[68:69], v[96:97], s[22:23]
	s_delay_alu instid0(VALU_DEP_4) | instskip(SKIP_1) | instid1(VALU_DEP_3)
	v_add_f64 v[44:45], v[56:57], v[44:45]
	v_mul_f64 v[56:57], v[132:133], s[16:17]
	v_add_f64 v[68:69], v[68:69], -v[84:85]
	v_mul_f64 v[84:85], v[104:105], s[26:27]
	s_delay_alu instid0(VALU_DEP_4) | instskip(SKIP_1) | instid1(VALU_DEP_4)
	v_add_f64 v[44:45], v[54:55], v[44:45]
	v_mul_f64 v[54:55], v[155:156], s[24:25]
	v_add_f64 v[46:47], v[68:69], v[46:47]
	scratch_load_b64 v[68:69], off, off offset:308 ; 8-byte Folded Reload
	v_add_f64 v[84:85], v[84:85], -v[86:87]
	scratch_load_b64 v[86:87], off, off offset:340 ; 8-byte Folded Reload
	v_add_f64 v[44:45], v[52:53], v[44:45]
	v_mul_f64 v[52:53], v[143:144], s[24:25]
	v_add_f64 v[46:47], v[84:85], v[46:47]
	scratch_load_b64 v[84:85], off, off offset:300 ; 8-byte Folded Reload
	s_waitcnt vmcnt(2)
	v_add_f64 v[60:61], v[60:61], -v[68:69]
	scratch_load_b64 v[68:69], off, off offset:468 ; 8-byte Folded Reload
	v_add_f64 v[46:47], v[60:61], v[46:47]
	scratch_load_b64 v[60:61], off, off offset:412 ; 8-byte Folded Reload
	v_add_f64 v[46:47], v[66:67], v[46:47]
	;; [unrolled: 2-line block ×3, first 2 shown]
	scratch_load_b64 v[62:63], off, off offset:396 ; 8-byte Folded Reload
	s_waitcnt vmcnt(3)
	v_add_f64 v[58:59], v[68:69], v[58:59]
	scratch_load_b64 v[68:69], off, off offset:516 ; 8-byte Folded Reload
	s_waitcnt vmcnt(3)
	v_add_f64 v[56:57], v[56:57], -v[60:61]
	scratch_load_b64 v[60:61], off, off offset:452 ; 8-byte Folded Reload
	v_add_f64 v[44:45], v[58:59], v[44:45]
	scratch_load_b64 v[58:59], off, off offset:564 ; 8-byte Folded Reload
	v_add_f64 v[56:57], v[56:57], v[46:47]
	s_waitcnt vmcnt(1)
	v_add_f64 v[54:55], v[60:61], v[54:55]
	scratch_load_b64 v[60:61], off, off offset:380 ; 8-byte Folded Reload
	v_add_f64 v[46:47], v[54:55], v[44:45]
	v_mul_f64 v[54:55], v[128:129], s[8:9]
	s_delay_alu instid0(VALU_DEP_1)
	v_add_f64 v[54:55], v[207:208], v[54:55]
	s_waitcnt vmcnt(0)
	v_add_f64 v[52:53], v[52:53], -v[60:61]
	scratch_load_b64 v[60:61], off, off offset:484 ; 8-byte Folded Reload
	v_add_f64 v[44:45], v[52:53], v[56:57]
	v_mul_f64 v[56:57], v[120:121], s[0:1]
	v_mul_f64 v[52:53], v[151:152], s[24:25]
	s_delay_alu instid0(VALU_DEP_2) | instskip(SKIP_1) | instid1(VALU_DEP_3)
	v_add_f64 v[56:57], v[58:59], v[56:57]
	v_mul_f64 v[58:59], v[112:113], s[20:21]
	v_add_f64 v[52:53], v[233:234], v[52:53]
	s_waitcnt vmcnt(0)
	s_delay_alu instid0(VALU_DEP_2) | instskip(SKIP_1) | instid1(VALU_DEP_1)
	v_add_f64 v[58:59], v[60:61], v[58:59]
	v_mul_f64 v[60:61], v[100:101], s[26:27]
	v_add_f64 v[60:61], v[62:63], v[60:61]
	v_mul_f64 v[62:63], v[124:125], s[24:25]
	s_delay_alu instid0(VALU_DEP_2) | instskip(NEXT) | instid1(VALU_DEP_2)
	v_add_f64 v[48:49], v[60:61], v[48:49]
	v_add_f64 v[62:63], v[62:63], -v[66:67]
	v_mul_f64 v[66:67], v[116:117], s[8:9]
	v_mul_f64 v[60:61], v[108:109], s[0:1]
	s_delay_alu instid0(VALU_DEP_4) | instskip(SKIP_1) | instid1(VALU_DEP_4)
	v_add_f64 v[48:49], v[58:59], v[48:49]
	v_mul_f64 v[58:59], v[147:148], s[22:23]
	v_add_f64 v[66:67], v[66:67], -v[68:69]
	v_mul_f64 v[68:69], v[96:97], s[26:27]
	s_delay_alu instid0(VALU_DEP_4) | instskip(SKIP_1) | instid1(VALU_DEP_3)
	v_add_f64 v[48:49], v[56:57], v[48:49]
	v_mul_f64 v[56:57], v[132:133], s[22:23]
	v_add_f64 v[68:69], v[68:69], -v[84:85]
	v_mul_f64 v[84:85], v[104:105], s[20:21]
	s_delay_alu instid0(VALU_DEP_4) | instskip(SKIP_1) | instid1(VALU_DEP_4)
	v_add_f64 v[48:49], v[54:55], v[48:49]
	v_mul_f64 v[54:55], v[155:156], s[6:7]
	v_add_f64 v[50:51], v[68:69], v[50:51]
	scratch_load_b64 v[68:69], off, off offset:364 ; 8-byte Folded Reload
	v_add_f64 v[84:85], v[84:85], -v[86:87]
	scratch_load_b64 v[86:87], off, off offset:420 ; 8-byte Folded Reload
	v_add_f64 v[48:49], v[52:53], v[48:49]
	v_mul_f64 v[52:53], v[143:144], s[6:7]
	v_add_f64 v[50:51], v[84:85], v[50:51]
	scratch_load_b64 v[84:85], off, off offset:356 ; 8-byte Folded Reload
	s_waitcnt vmcnt(2)
	v_add_f64 v[60:61], v[60:61], -v[68:69]
	scratch_load_b64 v[68:69], off, off offset:572 ; 8-byte Folded Reload
	v_add_f64 v[50:51], v[60:61], v[50:51]
	scratch_load_b64 v[60:61], off, off offset:500 ; 8-byte Folded Reload
	v_add_f64 v[50:51], v[66:67], v[50:51]
	v_mul_f64 v[66:67], v[116:117], s[26:27]
	s_delay_alu instid0(VALU_DEP_2) | instskip(NEXT) | instid1(VALU_DEP_2)
	v_add_f64 v[50:51], v[62:63], v[50:51]
	v_add_f64 v[66:67], v[66:67], -v[199:200]
	scratch_load_b64 v[62:63], off, off offset:492 ; 8-byte Folded Reload
	s_waitcnt vmcnt(2)
	v_add_f64 v[58:59], v[68:69], v[58:59]
	v_mul_f64 v[68:69], v[96:97], s[24:25]
	s_delay_alu instid0(VALU_DEP_2) | instskip(NEXT) | instid1(VALU_DEP_2)
	v_add_f64 v[48:49], v[58:59], v[48:49]
	v_add_f64 v[68:69], v[68:69], -v[84:85]
	v_mul_f64 v[84:85], v[104:105], s[6:7]
	v_mul_f64 v[58:59], v[112:113], s[6:7]
	s_delay_alu instid0(VALU_DEP_3) | instskip(NEXT) | instid1(VALU_DEP_3)
	v_add_f64 v[68:69], v[68:69], v[82:83]
	v_add_f64 v[84:85], v[84:85], -v[86:87]
	scratch_load_b64 v[86:87], off, off offset:540 ; 8-byte Folded Reload
	s_waitcnt vmcnt(2)
	v_add_f64 v[56:57], v[56:57], -v[60:61]
	s_clause 0x1
	scratch_load_b64 v[60:61], off, off offset:556
	scratch_load_b64 v[82:83], off, off offset:444
	v_add_f64 v[56:57], v[56:57], v[50:51]
	s_waitcnt vmcnt(1)
	v_add_f64 v[54:55], v[60:61], v[54:55]
	scratch_load_b64 v[60:61], off, off offset:476 ; 8-byte Folded Reload
	v_add_f64 v[50:51], v[54:55], v[48:49]
	v_mul_f64 v[54:55], v[128:129], s[26:27]
	s_delay_alu instid0(VALU_DEP_1)
	v_add_f64 v[54:55], v[241:242], v[54:55]
	s_waitcnt vmcnt(0)
	v_add_f64 v[52:53], v[52:53], -v[60:61]
	scratch_load_b64 v[60:61], off, off offset:588 ; 8-byte Folded Reload
	v_add_f64 v[48:49], v[52:53], v[56:57]
	v_mul_f64 v[56:57], v[120:121], s[8:9]
	v_mul_f64 v[52:53], v[151:152], s[16:17]
	s_delay_alu instid0(VALU_DEP_2) | instskip(NEXT) | instid1(VALU_DEP_2)
	v_add_f64 v[56:57], v[213:214], v[56:57]
	v_add_f64 v[52:53], v[253:254], v[52:53]
	s_waitcnt vmcnt(0)
	v_add_f64 v[58:59], v[60:61], v[58:59]
	v_mul_f64 v[60:61], v[100:101], s[24:25]
	s_delay_alu instid0(VALU_DEP_1) | instskip(SKIP_1) | instid1(VALU_DEP_2)
	v_add_f64 v[60:61], v[62:63], v[60:61]
	v_mul_f64 v[62:63], v[124:125], s[16:17]
	v_add_f64 v[60:61], v[60:61], v[80:81]
	v_mul_f64 v[80:81], v[108:109], s[8:9]
	s_delay_alu instid0(VALU_DEP_3) | instskip(NEXT) | instid1(VALU_DEP_3)
	v_add_f64 v[62:63], v[62:63], -v[227:228]
	v_add_f64 v[58:59], v[58:59], v[60:61]
	v_add_f64 v[60:61], v[84:85], v[68:69]
	scratch_load_b64 v[84:85], off, off offset:436 ; 8-byte Folded Reload
	v_add_f64 v[80:81], v[80:81], -v[82:83]
	v_mul_f64 v[68:69], v[147:148], s[0:1]
	v_mul_f64 v[82:83], v[96:97], s[20:21]
	v_add_f64 v[56:57], v[56:57], v[58:59]
	s_delay_alu instid0(VALU_DEP_4) | instskip(NEXT) | instid1(VALU_DEP_4)
	v_add_f64 v[58:59], v[80:81], v[60:61]
	v_add_f64 v[68:69], v[219:220], v[68:69]
	scratch_load_b64 v[80:81], off, off offset:612 ; 8-byte Folded Reload
	v_mul_f64 v[60:61], v[132:133], s[0:1]
	v_add_f64 v[54:55], v[54:55], v[56:57]
	v_add_f64 v[56:57], v[66:67], v[58:59]
	v_mul_f64 v[66:67], v[100:101], s[20:21]
	v_mul_f64 v[58:59], v[155:156], s[22:23]
	s_delay_alu instid0(VALU_DEP_4) | instskip(NEXT) | instid1(VALU_DEP_4)
	v_add_f64 v[52:53], v[52:53], v[54:55]
	v_add_f64 v[54:55], v[62:63], v[56:57]
	scratch_load_b64 v[62:63], off, off offset:580 ; 8-byte Folded Reload
	v_mul_f64 v[56:57], v[143:144], s[22:23]
	v_add_f64 v[58:59], v[209:210], v[58:59]
	v_add_f64 v[52:53], v[68:69], v[52:53]
	scratch_load_b64 v[68:69], off, off offset:604 ; 8-byte Folded Reload
	s_waitcnt vmcnt(3)
	v_add_f64 v[82:83], v[82:83], -v[84:85]
	v_mul_f64 v[84:85], v[104:105], s[0:1]
	s_delay_alu instid0(VALU_DEP_1) | instskip(SKIP_4) | instid1(VALU_DEP_2)
	v_add_f64 v[84:85], v[84:85], -v[86:87]
	scratch_load_b64 v[86:87], off, off offset:68 ; 8-byte Folded Reload
	s_waitcnt vmcnt(3)
	v_add_f64 v[60:61], v[60:61], -v[80:81]
	v_mul_f64 v[80:81], v[116:117], s[16:17]
	v_add_f64 v[60:61], v[60:61], v[54:55]
	v_add_f64 v[54:55], v[58:59], v[52:53]
	v_mul_f64 v[58:59], v[128:129], s[16:17]
	s_delay_alu instid0(VALU_DEP_4) | instskip(NEXT) | instid1(VALU_DEP_2)
	v_add_f64 v[80:81], v[80:81], -v[225:226]
	v_add_f64 v[58:59], v[102:103], v[58:59]
	s_waitcnt vmcnt(1)
	v_add_f64 v[66:67], v[68:69], v[66:67]
	v_mul_f64 v[68:69], v[124:125], s[6:7]
	s_delay_alu instid0(VALU_DEP_2)
	v_add_f64 v[66:67], v[66:67], v[76:77]
	v_add_f64 v[76:77], v[82:83], v[78:79]
	scratch_load_b64 v[82:83], off, off offset:548 ; 8-byte Folded Reload
	v_add_f64 v[56:57], v[56:57], -v[62:63]
	v_mul_f64 v[62:63], v[112:113], s[0:1]
	v_mul_f64 v[78:79], v[108:109], s[24:25]
	v_add_f64 v[68:69], v[68:69], -v[247:248]
	s_delay_alu instid0(VALU_DEP_4) | instskip(NEXT) | instid1(VALU_DEP_4)
	v_add_f64 v[52:53], v[56:57], v[60:61]
	v_add_f64 v[62:63], v[223:224], v[62:63]
	v_mul_f64 v[60:61], v[120:121], s[24:25]
	v_mul_f64 v[56:57], v[151:152], s[6:7]
	s_delay_alu instid0(VALU_DEP_3)
	v_add_f64 v[62:63], v[62:63], v[66:67]
	v_add_f64 v[66:67], v[84:85], v[76:77]
	scratch_load_b64 v[84:85], off, off offset:532 ; 8-byte Folded Reload
	v_add_f64 v[60:61], v[243:244], v[60:61]
	v_add_f64 v[56:57], v[114:115], v[56:57]
	v_mul_f64 v[76:77], v[147:148], s[26:27]
	s_delay_alu instid0(VALU_DEP_3) | instskip(NEXT) | instid1(VALU_DEP_2)
	v_add_f64 v[60:61], v[60:61], v[62:63]
	v_add_f64 v[76:77], v[235:236], v[76:77]
	s_delay_alu instid0(VALU_DEP_2) | instskip(NEXT) | instid1(VALU_DEP_1)
	v_add_f64 v[58:59], v[58:59], v[60:61]
	v_add_f64 v[56:57], v[56:57], v[58:59]
	s_delay_alu instid0(VALU_DEP_1) | instskip(SKIP_1) | instid1(VALU_DEP_1)
	v_add_f64 v[56:57], v[76:77], v[56:57]
	v_mul_f64 v[76:77], v[100:101], s[8:9]
	v_add_f64 v[76:77], v[211:212], v[76:77]
	s_delay_alu instid0(VALU_DEP_1) | instskip(SKIP_4) | instid1(VALU_DEP_3)
	v_add_f64 v[72:73], v[76:77], v[72:73]
	v_mul_f64 v[76:77], v[108:109], s[22:23]
	s_waitcnt vmcnt(1)
	v_add_f64 v[78:79], v[78:79], -v[82:83]
	v_mul_f64 v[82:83], v[96:97], s[8:9]
	v_add_f64 v[76:77], v[76:77], -v[201:202]
	s_delay_alu instid0(VALU_DEP_3) | instskip(SKIP_2) | instid1(VALU_DEP_3)
	v_add_f64 v[62:63], v[78:79], v[66:67]
	v_mul_f64 v[66:67], v[132:133], s[26:27]
	v_mul_f64 v[78:79], v[124:125], s[26:27]
	v_add_f64 v[60:61], v[80:81], v[62:63]
	s_delay_alu instid0(VALU_DEP_3)
	v_add_f64 v[66:67], v[66:67], -v[221:222]
	v_mul_f64 v[62:63], v[155:156], s[8:9]
	v_mul_f64 v[80:81], v[116:117], s[0:1]
	s_waitcnt vmcnt(0)
	v_add_f64 v[82:83], v[82:83], -v[84:85]
	v_mul_f64 v[84:85], v[104:105], s[16:17]
	v_add_f64 v[78:79], v[78:79], -v[106:107]
	v_add_f64 v[58:59], v[68:69], v[60:61]
	v_mul_f64 v[60:61], v[143:144], s[8:9]
	v_add_f64 v[62:63], v[231:232], v[62:63]
	v_mul_f64 v[68:69], v[112:113], s[16:17]
	v_add_f64 v[74:75], v[82:83], v[74:75]
	v_add_f64 v[84:85], v[84:85], -v[197:198]
	v_add_f64 v[80:81], v[80:81], -v[245:246]
	v_add_f64 v[66:67], v[66:67], v[58:59]
	v_add_f64 v[60:61], v[60:61], -v[205:206]
	v_add_f64 v[58:59], v[62:63], v[56:57]
	v_add_f64 v[68:69], v[239:240], v[68:69]
	v_mul_f64 v[62:63], v[128:129], s[0:1]
	s_delay_alu instid0(VALU_DEP_4) | instskip(SKIP_1) | instid1(VALU_DEP_4)
	v_add_f64 v[56:57], v[60:61], v[66:67]
	v_mul_f64 v[66:67], v[120:121], s[22:23]
	v_add_f64 v[68:69], v[68:69], v[72:73]
	v_mul_f64 v[60:61], v[151:152], s[26:27]
	v_add_f64 v[62:63], v[110:111], v[62:63]
	v_add_f64 v[72:73], v[84:85], v[74:75]
	v_mul_f64 v[74:75], v[147:148], s[6:7]
	s_clause 0x1
	scratch_load_b64 v[84:85], off, off offset:60
	scratch_load_b64 v[82:83], off, off offset:28
	v_add_f64 v[66:67], v[98:99], v[66:67]
	v_add_f64 v[60:61], v[118:119], v[60:61]
	;; [unrolled: 1-line block ×3, first 2 shown]
	s_delay_alu instid0(VALU_DEP_3) | instskip(SKIP_2) | instid1(VALU_DEP_3)
	v_add_f64 v[66:67], v[66:67], v[68:69]
	v_add_f64 v[68:69], v[76:77], v[72:73]
	v_mul_f64 v[72:73], v[132:133], s[6:7]
	v_add_f64 v[62:63], v[62:63], v[66:67]
	s_delay_alu instid0(VALU_DEP_3) | instskip(SKIP_1) | instid1(VALU_DEP_4)
	v_add_f64 v[66:67], v[80:81], v[68:69]
	v_mul_f64 v[68:69], v[155:156], s[20:21]
	v_add_f64 v[72:73], v[72:73], -v[237:238]
	s_clause 0x1
	scratch_load_b64 v[80:81], off, off offset:116
	scratch_load_b64 v[76:77], off, off offset:76
	v_add_f64 v[60:61], v[60:61], v[62:63]
	v_add_f64 v[62:63], v[78:79], v[66:67]
	;; [unrolled: 1-line block ×3, first 2 shown]
	v_mul_f64 v[66:67], v[143:144], s[20:21]
	scratch_load_b64 v[78:79], off, off offset:44 ; 8-byte Folded Reload
	v_add_f64 v[60:61], v[74:75], v[60:61]
	v_add_f64 v[72:73], v[72:73], v[62:63]
	scratch_load_b64 v[74:75], off, off offset:100 ; 8-byte Folded Reload
	v_add_f64 v[66:67], v[66:67], -v[229:230]
	v_add_f64 v[62:63], v[68:69], v[60:61]
	scratch_load_b64 v[68:69], off, off offset:180 ; 8-byte Folded Reload
	v_add_f64 v[60:61], v[66:67], v[72:73]
	scratch_load_b64 v[72:73], off, off offset:132 ; 8-byte Folded Reload
	v_mul_f64 v[66:67], v[151:152], s[22:23]
	s_waitcnt vmcnt(1)
	s_delay_alu instid0(VALU_DEP_1) | instskip(SKIP_2) | instid1(VALU_DEP_1)
	v_add_f64 v[66:67], v[68:69], v[66:67]
	v_mul_f64 v[68:69], v[128:129], s[20:21]
	s_waitcnt vmcnt(0)
	v_add_f64 v[68:69], v[72:73], v[68:69]
	v_mul_f64 v[72:73], v[120:121], s[16:17]
	s_delay_alu instid0(VALU_DEP_1) | instskip(SKIP_1) | instid1(VALU_DEP_1)
	v_add_f64 v[72:73], v[74:75], v[72:73]
	v_mul_f64 v[74:75], v[112:113], s[8:9]
	v_add_f64 v[74:75], v[76:77], v[74:75]
	v_mul_f64 v[76:77], v[100:101], s[6:7]
	s_delay_alu instid0(VALU_DEP_1) | instskip(SKIP_1) | instid1(VALU_DEP_2)
	v_add_f64 v[76:77], v[78:79], v[76:77]
	v_mul_f64 v[78:79], v[124:125], s[22:23]
	v_add_f64 v[64:65], v[76:77], v[64:65]
	s_delay_alu instid0(VALU_DEP_2) | instskip(SKIP_2) | instid1(VALU_DEP_4)
	v_add_f64 v[78:79], v[78:79], -v[80:81]
	v_mul_f64 v[80:81], v[96:97], s[6:7]
	v_mul_f64 v[76:77], v[116:117], s[20:21]
	v_add_f64 v[64:65], v[74:75], v[64:65]
	v_mul_f64 v[74:75], v[147:148], s[24:25]
	s_delay_alu instid0(VALU_DEP_4) | instskip(SKIP_1) | instid1(VALU_DEP_4)
	v_add_f64 v[80:81], v[80:81], -v[82:83]
	v_mul_f64 v[82:83], v[104:105], s[8:9]
	v_add_f64 v[64:65], v[72:73], v[64:65]
	v_mul_f64 v[72:73], v[132:133], s[24:25]
	s_delay_alu instid0(VALU_DEP_4) | instskip(SKIP_4) | instid1(VALU_DEP_3)
	v_add_f64 v[70:71], v[80:81], v[70:71]
	scratch_load_b64 v[80:81], off, off offset:84 ; 8-byte Folded Reload
	v_add_f64 v[82:83], v[82:83], -v[84:85]
	v_mul_f64 v[84:85], v[108:109], s[16:17]
	v_add_f64 v[64:65], v[68:69], v[64:65]
	v_add_f64 v[70:71], v[82:83], v[70:71]
	s_delay_alu instid0(VALU_DEP_3) | instskip(NEXT) | instid1(VALU_DEP_3)
	v_add_f64 v[84:85], v[84:85], -v[86:87]
	v_add_f64 v[64:65], v[66:67], v[64:65]
	s_delay_alu instid0(VALU_DEP_2)
	v_add_f64 v[70:71], v[84:85], v[70:71]
	s_waitcnt vmcnt(0)
	v_add_f64 v[76:77], v[76:77], -v[80:81]
	scratch_load_b64 v[80:81], off, off offset:164 ; 8-byte Folded Reload
	v_add_f64 v[68:69], v[76:77], v[70:71]
	scratch_load_b64 v[76:77], off, off offset:188 ; 8-byte Folded Reload
	v_mul_f64 v[70:71], v[155:156], s[26:27]
	v_add_f64 v[66:67], v[78:79], v[68:69]
	v_mul_f64 v[68:69], v[143:144], s[26:27]
	s_waitcnt vmcnt(1)
	v_add_f64 v[74:75], v[80:81], v[74:75]
	scratch_load_b64 v[80:81], off, off offset:140 ; 8-byte Folded Reload
	s_waitcnt vmcnt(1)
	v_add_f64 v[70:71], v[76:77], v[70:71]
	scratch_load_b64 v[76:77], off, off offset:156 ; 8-byte Folded Reload
	v_add_f64 v[64:65], v[74:75], v[64:65]
	s_waitcnt vmcnt(1)
	v_add_f64 v[72:73], v[72:73], -v[80:81]
	s_waitcnt vmcnt(0)
	v_add_f64 v[68:69], v[68:69], -v[76:77]
	s_delay_alu instid0(VALU_DEP_2) | instskip(NEXT) | instid1(VALU_DEP_4)
	v_add_f64 v[72:73], v[72:73], v[66:67]
	v_add_f64 v[66:67], v[70:71], v[64:65]
	s_delay_alu instid0(VALU_DEP_2) | instskip(SKIP_3) | instid1(VALU_DEP_1)
	v_add_f64 v[64:65], v[68:69], v[72:73]
	scratch_load_b32 v68, off, off offset:16 ; 4-byte Folded Reload
	s_waitcnt vmcnt(0)
	v_and_b32_e32 v68, 0xffff, v68
	v_add_lshl_u32 v68, v192, v68, 4
	ds_store_b128 v68, v[40:43] offset:32
	ds_store_b128 v68, v[24:27] offset:160
	;; [unrolled: 1-line block ×15, first 2 shown]
	ds_store_b128 v68, v[32:35]
	ds_store_b128 v68, v[0:3] offset:256
.LBB0_7:
	s_or_b32 exec_lo, exec_lo, s33
	scratch_load_b32 v42, off, off          ; 4-byte Folded Reload
	s_load_b128 s[4:7], s[4:5], 0x0
	s_waitcnt vmcnt(0) lgkmcnt(0)
	s_waitcnt_vscnt null, 0x0
	s_barrier
	buffer_gl0_inv
	s_mov_b32 s1, 0xbfee6f0e
	s_mov_b32 s10, 0x4755a5e
	;; [unrolled: 1-line block ×9, first 2 shown]
	v_add_nc_u16 v28, v42, 34
	v_add_nc_u16 v29, v42, 0x44
	;; [unrolled: 1-line block ×4, first 2 shown]
	v_add_co_u32 v36, s0, 0xffffffef, v42
	v_and_b32_e32 v30, 0xff, v28
	v_and_b32_e32 v31, 0xff, v29
	;; [unrolled: 1-line block ×4, first 2 shown]
	v_add_co_ci_u32_e64 v37, null, 0, -1, s0
	v_mul_lo_u16 v30, 0xf1, v30
	v_mul_lo_u16 v31, 0xf1, v31
	;; [unrolled: 1-line block ×3, first 2 shown]
	v_cmp_gt_u16_e64 s0, 17, v42
	v_mul_lo_u16 v35, 0xf1, v35
	v_lshrrev_b16 v30, 12, v30
	v_lshrrev_b16 v31, 12, v31
	;; [unrolled: 1-line block ×3, first 2 shown]
	v_cndmask_b32_e64 v89, v37, 0, s0
	v_cndmask_b32_e64 v88, v36, v42, s0
	v_mul_lo_u16 v37, v30, 17
	v_mul_lo_u16 v38, v31, 17
	v_lshrrev_b16 v35, 12, v35
	v_add_lshl_u32 v142, v192, v42, 4
	s_delay_alu instid0(VALU_DEP_4) | instskip(NEXT) | instid1(VALU_DEP_4)
	v_sub_nc_u16 v40, v28, v37
	v_sub_nc_u16 v36, v29, v38
	v_mul_lo_u16 v37, v34, 17
	v_lshlrev_b64 v[28:29], 4, v[88:89]
	v_mul_lo_u16 v38, v35, 17
	v_and_b32_e32 v39, 0xff, v40
	v_and_b32_e32 v41, 0xff, v36
	v_sub_nc_u16 v32, v32, v37
	v_mad_u16 v30, v30, 34, v40
	v_sub_nc_u16 v33, v33, v38
	v_add_co_u32 v28, s0, s2, v28
	s_delay_alu instid0(VALU_DEP_1)
	v_add_co_ci_u32_e64 v29, s0, s3, v29, s0
	v_and_b32_e32 v32, 0xff, v32
	v_lshlrev_b32_e32 v36, 4, v39
	v_and_b32_e32 v33, 0xff, v33
	global_load_b128 v[144:147], v[28:29], off
	v_lshlrev_b32_e32 v37, 4, v41
	v_cmp_lt_u16_e64 s0, 16, v42
	global_load_b128 v[208:211], v36, s[2:3]
	v_lshlrev_b32_e32 v28, 4, v32
	v_lshlrev_b32_e32 v29, 4, v33
	s_clause 0x2
	global_load_b128 v[212:215], v37, s[2:3]
	global_load_b128 v[248:251], v28, s[2:3]
	;; [unrolled: 1-line block ×3, first 2 shown]
	ds_load_b128 v[36:39], v142 offset:2720
	ds_load_b128 v[52:55], v142 offset:3264
	;; [unrolled: 1-line block ×6, first 2 shown]
	v_cndmask_b32_e64 v28, 0, 34, s0
	v_and_b32_e32 v29, 0xffff, v31
	v_and_b32_e32 v31, 0xffff, v34
	;; [unrolled: 1-line block ×3, first 2 shown]
	s_delay_alu instid0(VALU_DEP_4) | instskip(NEXT) | instid1(VALU_DEP_4)
	v_add_nc_u32_e32 v28, v88, v28
	v_mul_u32_u24_e32 v29, 34, v29
	s_delay_alu instid0(VALU_DEP_4) | instskip(NEXT) | instid1(VALU_DEP_4)
	v_mul_u32_u24_e32 v31, 34, v31
	v_mul_u32_u24_e32 v34, 34, v34
	s_delay_alu instid0(VALU_DEP_4) | instskip(SKIP_4) | instid1(VALU_DEP_4)
	v_add_lshl_u32 v233, v192, v28, 4
	v_and_b32_e32 v28, 0xff, v30
	v_add_nc_u32_e32 v29, v29, v41
	v_add_nc_u32_e32 v30, v31, v32
	;; [unrolled: 1-line block ×3, first 2 shown]
	v_add_lshl_u32 v232, v192, v28, 4
	s_delay_alu instid0(VALU_DEP_4) | instskip(NEXT) | instid1(VALU_DEP_4)
	v_add_lshl_u32 v140, v192, v29, 4
	v_add_lshl_u32 v191, v192, v30, 4
	s_delay_alu instid0(VALU_DEP_4)
	v_add_lshl_u32 v148, v192, v31, 4
	s_waitcnt vmcnt(4) lgkmcnt(5)
	v_mul_f64 v[72:73], v[38:39], v[146:147]
	v_mul_f64 v[74:75], v[36:37], v[146:147]
	s_waitcnt vmcnt(3) lgkmcnt(4)
	v_mul_f64 v[76:77], v[54:55], v[210:211]
	v_mul_f64 v[78:79], v[52:53], v[210:211]
	s_waitcnt vmcnt(2) lgkmcnt(3)
	v_mul_f64 v[80:81], v[58:59], v[214:215]
	v_mul_f64 v[82:83], v[56:57], v[214:215]
	s_waitcnt vmcnt(1) lgkmcnt(2)
	v_mul_f64 v[84:85], v[62:63], v[250:251]
	v_mul_f64 v[86:87], v[60:61], v[250:251]
	s_waitcnt vmcnt(0) lgkmcnt(1)
	v_mul_f64 v[89:90], v[66:67], v[246:247]
	v_mul_f64 v[91:92], v[64:65], v[246:247]
	v_fma_f64 v[72:73], v[36:37], v[144:145], -v[72:73]
	v_fma_f64 v[74:75], v[38:39], v[144:145], v[74:75]
	v_fma_f64 v[76:77], v[52:53], v[208:209], -v[76:77]
	v_fma_f64 v[78:79], v[54:55], v[208:209], v[78:79]
	;; [unrolled: 2-line block ×5, first 2 shown]
	ds_load_b128 v[36:39], v142
	ds_load_b128 v[52:55], v142 offset:544
	ds_load_b128 v[56:59], v142 offset:1088
	;; [unrolled: 1-line block ×3, first 2 shown]
	s_waitcnt lgkmcnt(0)
	s_barrier
	buffer_gl0_inv
	v_add_f64 v[64:65], v[36:37], -v[72:73]
	v_add_f64 v[66:67], v[38:39], -v[74:75]
	;; [unrolled: 1-line block ×10, first 2 shown]
	v_mad_u64_u32 v[89:90], null, 0x90, v42, s[2:3]
	s_mov_b32 s2, 0x134454ff
	s_mov_b32 s3, 0x3fee6f0e
	;; [unrolled: 1-line block ×3, first 2 shown]
	v_fma_f64 v[36:37], v[36:37], 2.0, -v[64:65]
	v_fma_f64 v[38:39], v[38:39], 2.0, -v[66:67]
	v_fma_f64 v[52:53], v[52:53], 2.0, -v[72:73]
	v_fma_f64 v[54:55], v[54:55], 2.0, -v[74:75]
	v_fma_f64 v[56:57], v[56:57], 2.0, -v[76:77]
	v_fma_f64 v[58:59], v[58:59], 2.0, -v[78:79]
	v_fma_f64 v[60:61], v[60:61], 2.0, -v[80:81]
	v_fma_f64 v[62:63], v[62:63], 2.0, -v[82:83]
	v_fma_f64 v[68:69], v[68:69], 2.0, -v[84:85]
	v_fma_f64 v[70:71], v[70:71], 2.0, -v[86:87]
	ds_store_b128 v233, v[36:39]
	ds_store_b128 v233, v[64:67] offset:272
	ds_store_b128 v232, v[52:55]
	ds_store_b128 v232, v[72:75] offset:272
	;; [unrolled: 2-line block ×5, first 2 shown]
	s_waitcnt lgkmcnt(0)
	s_barrier
	buffer_gl0_inv
	s_clause 0x8
	global_load_b128 v[216:219], v[89:90], off offset:304
	global_load_b128 v[224:227], v[89:90], off offset:336
	;; [unrolled: 1-line block ×9, first 2 shown]
	ds_load_b128 v[84:87], v142 offset:1632
	ds_load_b128 v[88:91], v142 offset:2720
	;; [unrolled: 1-line block ×6, first 2 shown]
	s_waitcnt vmcnt(8) lgkmcnt(5)
	v_mul_f64 v[108:109], v[86:87], v[218:219]
	v_mul_f64 v[110:111], v[84:85], v[218:219]
	s_waitcnt vmcnt(7) lgkmcnt(4)
	v_mul_f64 v[112:113], v[90:91], v[226:227]
	v_mul_f64 v[114:115], v[88:89], v[226:227]
	s_waitcnt vmcnt(6) lgkmcnt(3)
	v_mul_f64 v[116:117], v[92:93], v[222:223]
	s_waitcnt vmcnt(5) lgkmcnt(2)
	v_mul_f64 v[118:119], v[96:97], v[230:231]
	v_mul_f64 v[120:121], v[98:99], v[230:231]
	;; [unrolled: 1-line block ×3, first 2 shown]
	s_waitcnt vmcnt(4) lgkmcnt(1)
	v_mul_f64 v[124:125], v[102:103], v[66:67]
	v_mul_f64 v[126:127], v[100:101], v[66:67]
	v_fma_f64 v[108:109], v[84:85], v[216:217], -v[108:109]
	v_fma_f64 v[110:111], v[86:87], v[216:217], v[110:111]
	v_fma_f64 v[112:113], v[88:89], v[224:225], -v[112:113]
	v_fma_f64 v[114:115], v[90:91], v[224:225], v[114:115]
	v_fma_f64 v[116:117], v[94:95], v[220:221], v[116:117]
	;; [unrolled: 1-line block ×3, first 2 shown]
	v_fma_f64 v[96:97], v[96:97], v[228:229], -v[120:121]
	v_fma_f64 v[118:119], v[92:93], v[220:221], -v[122:123]
	ds_load_b128 v[84:87], v142 offset:2176
	ds_load_b128 v[88:91], v142 offset:3264
	;; [unrolled: 1-line block ×3, first 2 shown]
	scratch_load_b32 v28, off, off offset:4 ; 4-byte Folded Reload
	s_waitcnt vmcnt(4) lgkmcnt(3)
	v_mul_f64 v[120:121], v[106:107], v[82:83]
	v_mul_f64 v[122:123], v[104:105], v[82:83]
	v_fma_f64 v[100:101], v[100:101], v[64:65], -v[124:125]
	v_fma_f64 v[102:103], v[102:103], v[64:65], v[126:127]
	s_waitcnt vmcnt(3) lgkmcnt(2)
	v_mul_f64 v[128:129], v[86:87], v[78:79]
	v_mul_f64 v[130:131], v[84:85], v[78:79]
	s_waitcnt vmcnt(2) lgkmcnt(1)
	v_mul_f64 v[132:133], v[90:91], v[74:75]
	s_waitcnt vmcnt(1) lgkmcnt(0)
	v_mul_f64 v[134:135], v[94:95], v[70:71]
	v_mul_f64 v[136:137], v[88:89], v[74:75]
	;; [unrolled: 1-line block ×3, first 2 shown]
	v_add_f64 v[157:158], v[108:109], -v[112:113]
	v_add_f64 v[161:162], v[112:113], -v[108:109]
	v_add_f64 v[124:125], v[114:115], v[116:117]
	v_add_f64 v[126:127], v[110:111], v[98:99]
	;; [unrolled: 1-line block ×4, first 2 shown]
	v_add_f64 v[159:160], v[96:97], -v[118:119]
	v_add_f64 v[163:164], v[118:119], -v[96:97]
	v_fma_f64 v[104:105], v[104:105], v[80:81], -v[120:121]
	v_fma_f64 v[106:107], v[106:107], v[80:81], v[122:123]
	v_add_f64 v[165:166], v[110:111], -v[114:115]
	v_add_f64 v[167:168], v[98:99], -v[116:117]
	;; [unrolled: 1-line block ×4, first 2 shown]
	v_fma_f64 v[120:121], v[84:85], v[76:77], -v[128:129]
	v_fma_f64 v[122:123], v[86:87], v[76:77], v[130:131]
	v_fma_f64 v[88:89], v[88:89], v[72:73], -v[132:133]
	v_fma_f64 v[92:93], v[92:93], v[68:69], -v[134:135]
	v_fma_f64 v[90:91], v[90:91], v[72:73], v[136:137]
	v_fma_f64 v[94:95], v[94:95], v[68:69], v[138:139]
	v_add_f64 v[128:129], v[110:111], -v[98:99]
	v_add_f64 v[130:131], v[114:115], -v[116:117]
	v_add_f64 v[132:133], v[108:109], -v[96:97]
	v_add_f64 v[134:135], v[112:113], -v[118:119]
	ds_load_b128 v[84:87], v142
	v_fma_f64 v[124:125], v[124:125], -0.5, v[102:103]
	v_fma_f64 v[126:127], v[126:127], -0.5, v[102:103]
	v_fma_f64 v[136:137], v[149:150], -0.5, v[100:101]
	v_fma_f64 v[138:139], v[151:152], -0.5, v[100:101]
	v_add_f64 v[100:101], v[100:101], v[108:109]
	v_add_f64 v[102:103], v[102:103], v[110:111]
	s_waitcnt lgkmcnt(0)
	v_add_f64 v[181:182], v[84:85], v[104:105]
	v_add_f64 v[187:188], v[86:87], v[106:107]
	;; [unrolled: 1-line block ×6, first 2 shown]
	v_add_f64 v[183:184], v[106:107], -v[94:95]
	v_add_f64 v[185:186], v[122:123], -v[90:91]
	;; [unrolled: 1-line block ×4, first 2 shown]
	v_fma_f64 v[173:174], v[132:133], s[0:1], v[124:125]
	v_fma_f64 v[175:176], v[134:135], s[2:3], v[126:127]
	;; [unrolled: 1-line block ×8, first 2 shown]
	v_add_f64 v[100:101], v[100:101], v[112:113]
	v_add_f64 v[102:103], v[102:103], v[114:115]
	v_fma_f64 v[108:109], v[149:150], -0.5, v[84:85]
	v_fma_f64 v[84:85], v[151:152], -0.5, v[84:85]
	;; [unrolled: 1-line block ×4, first 2 shown]
	v_add_f64 v[149:150], v[157:158], v[159:160]
	v_add_f64 v[151:152], v[161:162], v[163:164]
	;; [unrolled: 1-line block ×4, first 2 shown]
	v_add_f64 v[165:166], v[94:95], -v[90:91]
	v_add_f64 v[167:168], v[90:91], -v[94:95]
	v_fma_f64 v[157:158], v[134:135], s[8:9], v[173:174]
	v_fma_f64 v[159:160], v[132:133], s[8:9], v[175:176]
	;; [unrolled: 1-line block ×8, first 2 shown]
	v_add_f64 v[132:133], v[104:105], -v[120:121]
	v_add_f64 v[134:135], v[92:93], -v[88:89]
	;; [unrolled: 1-line block ×6, first 2 shown]
	v_add_f64 v[120:121], v[181:182], v[120:121]
	v_add_f64 v[122:123], v[187:188], v[122:123]
	;; [unrolled: 1-line block ×4, first 2 shown]
	v_fma_f64 v[112:113], v[183:184], s[2:3], v[108:109]
	v_fma_f64 v[108:109], v[183:184], s[0:1], v[108:109]
	;; [unrolled: 1-line block ×16, first 2 shown]
	v_add_f64 v[132:133], v[132:133], v[134:135]
	v_add_f64 v[104:105], v[104:105], v[136:137]
	;; [unrolled: 1-line block ×6, first 2 shown]
	v_fma_f64 v[112:113], v[185:186], s[10:11], v[112:113]
	v_fma_f64 v[108:109], v[185:186], s[8:9], v[108:109]
	;; [unrolled: 1-line block ×8, first 2 shown]
	v_mul_f64 v[120:121], v[157:158], s[10:11]
	v_mul_f64 v[122:123], v[159:160], s[2:3]
	;; [unrolled: 1-line block ×8, first 2 shown]
	v_add_f64 v[88:89], v[88:89], v[92:93]
	v_add_f64 v[90:91], v[90:91], v[94:95]
	;; [unrolled: 1-line block ×4, first 2 shown]
	v_fma_f64 v[112:113], v[132:133], s[16:17], v[112:113]
	v_fma_f64 v[132:133], v[132:133], s[16:17], v[108:109]
	;; [unrolled: 1-line block ×10, first 2 shown]
	v_fma_f64 v[116:117], v[126:127], s[2:3], -v[136:137]
	v_fma_f64 v[122:123], v[124:125], s[10:11], -v[138:139]
	v_fma_f64 v[124:125], v[157:158], s[18:19], v[149:150]
	v_fma_f64 v[126:127], v[159:160], s[16:17], v[151:152]
	v_fma_f64 v[128:129], v[161:162], s[0:1], -v[153:154]
	v_fma_f64 v[130:131], v[163:164], s[8:9], -v[155:156]
	v_add_f64 v[84:85], v[88:89], v[92:93]
	v_add_f64 v[86:87], v[90:91], v[94:95]
	v_add_f64 v[104:105], v[88:89], -v[92:93]
	v_add_f64 v[106:107], v[90:91], -v[94:95]
	v_add_f64 v[88:89], v[112:113], v[108:109]
	v_add_f64 v[92:93], v[114:115], v[110:111]
	;; [unrolled: 1-line block ×8, first 2 shown]
	v_add_f64 v[108:109], v[112:113], -v[108:109]
	v_add_f64 v[112:113], v[114:115], -v[110:111]
	;; [unrolled: 1-line block ×8, first 2 shown]
	s_waitcnt vmcnt(0)
	v_lshl_add_u32 v143, v42, 4, v28
	v_lshl_add_u32 v141, v42, 4, v28
	ds_store_b128 v143, v[84:87]
	ds_store_b128 v141, v[88:91] offset:544
	ds_store_b128 v141, v[92:95] offset:1088
	;; [unrolled: 1-line block ×9, first 2 shown]
	s_waitcnt lgkmcnt(0)
	s_barrier
	buffer_gl0_inv
	s_and_saveexec_b32 s1, vcc_lo
	s_cbranch_execz .LBB0_9
; %bb.8:
	s_add_u32 s2, s12, 0x1540
	s_addc_u32 s3, s13, 0
	v_add_co_u32 v28, s0, s2, v255
	s_clause 0x6
	global_load_b128 v[136:139], v255, s[2:3]
	global_load_b128 v[124:127], v255, s[2:3] offset:320
	global_load_b128 v[128:131], v255, s[2:3] offset:640
	;; [unrolled: 1-line block ×6, first 2 shown]
	ds_load_b128 v[161:164], v143
	s_clause 0x1
	global_load_b128 v[165:168], v255, s[2:3] offset:2240
	global_load_b128 v[169:172], v255, s[2:3] offset:2560
	v_add_co_ci_u32_e64 v29, null, s3, 0, s0
	v_add_co_u32 v200, s0, 0x1000, v28
	v_or_b32_e32 v28, 0x1400, v255
	s_delay_alu instid0(VALU_DEP_3) | instskip(SKIP_3) | instid1(VALU_DEP_2)
	v_add_co_ci_u32_e64 v201, s0, 0, v29, s0
	s_waitcnt vmcnt(8) lgkmcnt(0)
	v_mul_f64 v[173:174], v[163:164], v[138:139]
	v_mul_f64 v[138:139], v[161:162], v[138:139]
	v_fma_f64 v[161:162], v[161:162], v[136:137], -v[173:174]
	s_delay_alu instid0(VALU_DEP_2)
	v_fma_f64 v[163:164], v[163:164], v[136:137], v[138:139]
	global_load_b128 v[136:139], v255, s[2:3] offset:2880
	ds_store_b128 v143, v[161:164]
	ds_load_b128 v[161:164], v141 offset:320
	ds_load_b128 v[173:176], v141 offset:640
	global_load_b128 v[177:180], v255, s[2:3] offset:3200
	ds_load_b128 v[181:184], v141 offset:960
	s_waitcnt vmcnt(9) lgkmcnt(2)
	v_mul_f64 v[185:186], v[163:164], v[126:127]
	v_mul_f64 v[126:127], v[161:162], v[126:127]
	s_waitcnt vmcnt(8) lgkmcnt(1)
	v_mul_f64 v[189:190], v[175:176], v[130:131]
	v_mul_f64 v[130:131], v[173:174], v[130:131]
	s_delay_alu instid0(VALU_DEP_4)
	v_fma_f64 v[161:162], v[161:162], v[124:125], -v[185:186]
	ds_load_b128 v[185:188], v141 offset:1280
	v_fma_f64 v[163:164], v[163:164], v[124:125], v[126:127]
	global_load_b128 v[124:127], v255, s[2:3] offset:3520
	v_fma_f64 v[173:174], v[173:174], v[128:129], -v[189:190]
	v_fma_f64 v[175:176], v[175:176], v[128:129], v[130:131]
	global_load_b128 v[128:131], v255, s[2:3] offset:3840
	s_waitcnt vmcnt(9) lgkmcnt(1)
	v_mul_f64 v[192:193], v[183:184], v[134:135]
	v_mul_f64 v[134:135], v[181:182], v[134:135]
	s_waitcnt vmcnt(8) lgkmcnt(0)
	v_mul_f64 v[189:190], v[187:188], v[151:152]
	v_mul_f64 v[151:152], v[185:186], v[151:152]
	s_delay_alu instid0(VALU_DEP_4) | instskip(NEXT) | instid1(VALU_DEP_4)
	v_fma_f64 v[181:182], v[181:182], v[132:133], -v[192:193]
	v_fma_f64 v[183:184], v[183:184], v[132:133], v[134:135]
	ds_load_b128 v[132:135], v141 offset:1600
	v_fma_f64 v[185:186], v[185:186], v[149:150], -v[189:190]
	v_fma_f64 v[187:188], v[187:188], v[149:150], v[151:152]
	ds_load_b128 v[149:152], v141 offset:1920
	s_waitcnt vmcnt(7) lgkmcnt(1)
	v_mul_f64 v[189:190], v[134:135], v[155:156]
	v_mul_f64 v[155:156], v[132:133], v[155:156]
	s_waitcnt vmcnt(6) lgkmcnt(0)
	v_mul_f64 v[192:193], v[151:152], v[159:160]
	v_mul_f64 v[159:160], v[149:150], v[159:160]
	s_delay_alu instid0(VALU_DEP_4) | instskip(NEXT) | instid1(VALU_DEP_4)
	v_fma_f64 v[132:133], v[132:133], v[153:154], -v[189:190]
	v_fma_f64 v[134:135], v[134:135], v[153:154], v[155:156]
	ds_load_b128 v[153:156], v141 offset:2240
	v_fma_f64 v[149:150], v[149:150], v[157:158], -v[192:193]
	v_fma_f64 v[151:152], v[151:152], v[157:158], v[159:160]
	ds_load_b128 v[157:160], v141 offset:2560
	;; [unrolled: 13-line block ×3, first 2 shown]
	s_waitcnt vmcnt(3) lgkmcnt(1)
	v_mul_f64 v[189:190], v[167:168], v[138:139]
	v_mul_f64 v[138:139], v[165:166], v[138:139]
	s_delay_alu instid0(VALU_DEP_2) | instskip(SKIP_3) | instid1(VALU_DEP_4)
	v_fma_f64 v[165:166], v[165:166], v[136:137], -v[189:190]
	s_waitcnt vmcnt(2) lgkmcnt(0)
	v_mul_f64 v[192:193], v[171:172], v[179:180]
	v_mul_f64 v[179:180], v[169:170], v[179:180]
	v_fma_f64 v[167:168], v[167:168], v[136:137], v[138:139]
	ds_load_b128 v[136:139], v141 offset:3520
	v_fma_f64 v[169:170], v[169:170], v[177:178], -v[192:193]
	v_fma_f64 v[171:172], v[171:172], v[177:178], v[179:180]
	ds_load_b128 v[177:180], v141 offset:3840
	s_waitcnt vmcnt(1) lgkmcnt(1)
	v_mul_f64 v[189:190], v[138:139], v[126:127]
	v_mul_f64 v[126:127], v[136:137], v[126:127]
	s_delay_alu instid0(VALU_DEP_2) | instskip(NEXT) | instid1(VALU_DEP_2)
	v_fma_f64 v[136:137], v[136:137], v[124:125], -v[189:190]
	v_fma_f64 v[138:139], v[138:139], v[124:125], v[126:127]
	global_load_b128 v[124:127], v[200:201], off offset:64
	s_waitcnt vmcnt(1) lgkmcnt(0)
	v_mul_f64 v[189:190], v[179:180], v[130:131]
	v_mul_f64 v[130:131], v[177:178], v[130:131]
	s_delay_alu instid0(VALU_DEP_2) | instskip(NEXT) | instid1(VALU_DEP_2)
	v_fma_f64 v[177:178], v[177:178], v[128:129], -v[189:190]
	v_fma_f64 v[179:180], v[179:180], v[128:129], v[130:131]
	global_load_b128 v[128:131], v[200:201], off offset:384
	ds_load_b128 v[192:195], v141 offset:4160
	ds_load_b128 v[196:199], v141 offset:4480
	s_waitcnt vmcnt(1) lgkmcnt(1)
	v_mul_f64 v[189:190], v[194:195], v[126:127]
	v_mul_f64 v[126:127], v[192:193], v[126:127]
	s_delay_alu instid0(VALU_DEP_2) | instskip(NEXT) | instid1(VALU_DEP_2)
	v_fma_f64 v[192:193], v[192:193], v[124:125], -v[189:190]
	v_fma_f64 v[194:195], v[194:195], v[124:125], v[126:127]
	s_waitcnt vmcnt(0) lgkmcnt(0)
	v_mul_f64 v[124:125], v[198:199], v[130:131]
	v_mul_f64 v[126:127], v[196:197], v[130:131]
	s_delay_alu instid0(VALU_DEP_2) | instskip(NEXT) | instid1(VALU_DEP_2)
	v_fma_f64 v[124:125], v[196:197], v[128:129], -v[124:125]
	v_fma_f64 v[126:127], v[198:199], v[128:129], v[126:127]
	s_clause 0x1
	global_load_b128 v[128:131], v[200:201], off offset:704
	global_load_b128 v[196:199], v28, s[2:3]
	ds_load_b128 v[200:203], v141 offset:4800
	ds_load_b128 v[204:207], v141 offset:5120
	s_waitcnt vmcnt(1) lgkmcnt(1)
	v_mul_f64 v[189:190], v[202:203], v[130:131]
	v_mul_f64 v[130:131], v[200:201], v[130:131]
	s_delay_alu instid0(VALU_DEP_2) | instskip(NEXT) | instid1(VALU_DEP_2)
	v_fma_f64 v[200:201], v[200:201], v[128:129], -v[189:190]
	v_fma_f64 v[202:203], v[202:203], v[128:129], v[130:131]
	s_waitcnt vmcnt(0) lgkmcnt(0)
	v_mul_f64 v[128:129], v[206:207], v[198:199]
	v_mul_f64 v[130:131], v[204:205], v[198:199]
	s_delay_alu instid0(VALU_DEP_2) | instskip(NEXT) | instid1(VALU_DEP_2)
	v_fma_f64 v[128:129], v[204:205], v[196:197], -v[128:129]
	v_fma_f64 v[130:131], v[206:207], v[196:197], v[130:131]
	ds_store_b128 v141, v[161:164] offset:320
	ds_store_b128 v141, v[173:176] offset:640
	;; [unrolled: 1-line block ×16, first 2 shown]
.LBB0_9:
	s_or_b32 exec_lo, exec_lo, s1
	s_waitcnt lgkmcnt(0)
	s_barrier
	buffer_gl0_inv
	s_and_saveexec_b32 s0, vcc_lo
	s_cbranch_execz .LBB0_11
; %bb.10:
	ds_load_b128 v[84:87], v143
	ds_load_b128 v[88:91], v143 offset:320
	ds_load_b128 v[92:95], v143 offset:640
	;; [unrolled: 1-line block ×16, first 2 shown]
.LBB0_11:
	s_or_b32 exec_lo, exec_lo, s0
	s_waitcnt lgkmcnt(0)
	s_barrier
	buffer_gl0_inv
	s_and_saveexec_b32 s33, vcc_lo
	s_cbranch_execz .LBB0_13
; %bb.12:
	v_add_f64 v[126:127], v[84:85], v[88:89]
	v_add_f64 v[124:125], v[86:87], v[90:91]
	v_add_f64 v[134:135], v[92:93], -v[4:5]
	s_mov_b32 s24, 0x6c9a05f6
	s_mov_b32 s25, 0xbfe9895b
	s_mov_b32 s46, 0x923c349f
	s_mov_b32 s8, 0x6ed5f1bb
	s_mov_b32 s47, 0xbfeec746
	s_mov_b32 s9, 0xbfe348c8
	s_mov_b32 s10, 0xc61f0d01
	s_mov_b32 s11, 0xbfd183b1
	s_mov_b32 s26, 0xeb564b22
	s_mov_b32 s27, 0x3fefdd0d
	s_mov_b32 s43, 0xbfefdd0d
	s_mov_b32 s42, s26
	s_mov_b32 s16, 0x3259b75e
	s_mov_b32 s17, 0x3fb79ee6
	s_mov_b32 s44, 0x7c9e640b
	s_mov_b32 s45, 0x3feca52d
	s_mov_b32 s37, 0xbfeca52d
	s_mov_b32 s36, s44
	s_mov_b32 s18, 0x2b2883cd
	s_mov_b32 s19, 0x3fdc86fa
	s_mov_b32 s34, 0x2a9d6da3
	s_mov_b32 s35, 0x3fe58eea
	s_mov_b32 s49, 0xbfe58eea
	s_mov_b32 s48, s34
	s_mov_b32 s20, 0x75d4884
	s_mov_b32 s21, 0x3fe7a5f6
	s_mov_b32 s30, 0xacd6c6b4
	s_mov_b32 s40, 0x5d8e7cdc
	s_mov_b32 s31, 0xbfc7851a
	s_mov_b32 s41, 0x3fd71e95
	s_mov_b32 s29, 0xbfd71e95
	s_mov_b32 s28, s40
	s_mov_b32 s2, 0x910ea3b9
	s_mov_b32 s0, 0x7faef3
	s_mov_b32 s22, 0x370991
	v_add_f64 v[126:127], v[126:127], v[92:93]
	v_add_f64 v[124:125], v[124:125], v[94:95]
	;; [unrolled: 1-line block ×3, first 2 shown]
	s_mov_b32 s3, 0xbfeb34fa
	s_mov_b32 s1, 0xbfef7484
	;; [unrolled: 1-line block ×3, first 2 shown]
	s_clause 0x1
	scratch_store_b128 off, v[208:211], off offset:28
	scratch_store_b128 off, v[212:215], off offset:44
	v_dual_mov_b32 v198, v216 :: v_dual_mov_b32 v199, v217
	v_dual_mov_b32 v200, v218 :: v_dual_mov_b32 v201, v219
	s_mov_b32 s51, 0x3fe9895b
	s_mov_b32 s50, s24
	;; [unrolled: 1-line block ×4, first 2 shown]
	v_mul_f64 v[252:253], v[134:135], s[42:43]
	v_dual_mov_b32 v205, v79 :: v_dual_mov_b32 v204, v78
	v_dual_mov_b32 v203, v77 :: v_dual_mov_b32 v202, v76
	;; [unrolled: 1-line block ×4, first 2 shown]
	v_add_f64 v[126:127], v[126:127], v[96:97]
	v_add_f64 v[124:125], v[124:125], v[98:99]
	s_delay_alu instid0(VALU_DEP_2) | instskip(NEXT) | instid1(VALU_DEP_2)
	v_add_f64 v[126:127], v[126:127], v[100:101]
	v_add_f64 v[124:125], v[124:125], v[102:103]
	s_delay_alu instid0(VALU_DEP_2) | instskip(NEXT) | instid1(VALU_DEP_2)
	;; [unrolled: 3-line block ×5, first 2 shown]
	v_add_f64 v[130:131], v[126:127], v[120:121]
	v_add_f64 v[128:129], v[124:125], v[122:123]
	v_add_f64 v[126:127], v[120:121], -v[116:117]
	v_add_f64 v[124:125], v[122:123], v[118:119]
	v_add_f64 v[120:121], v[120:121], v[116:117]
	v_add_f64 v[122:123], v[122:123], -v[118:119]
	;; [unrolled: 3-line block ×4, first 2 shown]
	v_mul_f64 v[216:217], v[126:127], s[26:27]
	v_mul_f64 v[218:219], v[122:123], s[26:27]
	;; [unrolled: 1-line block ×3, first 2 shown]
	v_add_f64 v[130:131], v[130:131], v[24:25]
	v_add_f64 v[132:133], v[128:129], v[26:27]
	v_add_f64 v[128:129], v[108:109], -v[20:21]
	v_add_f64 v[26:27], v[110:111], v[22:23]
	v_add_f64 v[24:25], v[108:109], v[20:21]
	v_add_f64 v[108:109], v[110:111], -v[22:23]
	v_add_f64 v[110:111], v[104:105], -v[16:17]
	v_mul_f64 v[70:71], v[118:119], s[44:45]
	v_mul_f64 v[56:57], v[114:115], s[42:43]
	;; [unrolled: 1-line block ×3, first 2 shown]
	v_add_f64 v[130:131], v[130:131], v[20:21]
	v_add_f64 v[132:133], v[132:133], v[22:23]
	;; [unrolled: 1-line block ×4, first 2 shown]
	v_add_f64 v[104:105], v[106:107], -v[18:19]
	v_add_f64 v[106:107], v[100:101], -v[12:13]
	v_mul_f64 v[52:53], v[108:109], s[28:29]
	v_mul_f64 v[236:237], v[108:109], s[38:39]
	v_fma_f64 v[58:59], v[112:113], s[16:17], v[56:57]
	v_mul_f64 v[240:241], v[108:109], s[26:27]
	v_add_f64 v[130:131], v[130:131], v[16:17]
	v_add_f64 v[132:133], v[132:133], v[18:19]
	;; [unrolled: 1-line block ×4, first 2 shown]
	v_add_f64 v[102:103], v[102:103], -v[14:15]
	v_add_f64 v[100:101], v[98:99], v[10:11]
	v_add_f64 v[98:99], v[98:99], -v[10:11]
	v_mul_f64 v[78:79], v[106:107], s[30:31]
	v_mul_f64 v[48:49], v[104:105], s[34:35]
	v_fma_f64 v[54:55], v[24:25], s[22:23], v[52:53]
	v_mul_f64 v[234:235], v[104:105], s[36:37]
	v_add_f64 v[12:13], v[130:131], v[12:13]
	v_add_f64 v[14:15], v[132:133], v[14:15]
	v_add_f64 v[130:131], v[96:97], -v[8:9]
	v_add_f64 v[96:97], v[96:97], v[8:9]
	v_add_f64 v[132:133], v[94:95], -v[6:7]
	v_add_f64 v[94:95], v[94:95], v[6:7]
	v_mul_f64 v[44:45], v[102:103], s[52:53]
	v_mul_f64 v[68:69], v[102:103], s[40:41]
	v_fma_f64 v[50:51], v[20:21], s[20:21], v[48:49]
	v_mul_f64 v[76:77], v[102:103], s[36:37]
	v_add_f64 v[8:9], v[12:13], v[8:9]
	v_add_f64 v[10:11], v[14:15], v[10:11]
	;; [unrolled: 1-line block ×4, first 2 shown]
	v_mul_f64 v[36:37], v[132:133], s[24:25]
	v_mul_f64 v[60:61], v[130:131], s[52:53]
	v_fma_f64 v[46:47], v[16:17], s[10:11], v[44:45]
	v_add_f64 v[4:5], v[8:9], v[4:5]
	v_add_f64 v[8:9], v[88:89], -v[0:1]
	v_add_f64 v[6:7], v[10:11], v[6:7]
	v_add_f64 v[10:11], v[90:91], -v[2:3]
	v_fma_f64 v[38:39], v[92:93], s[8:9], v[36:37]
	v_fma_f64 v[62:63], v[100:101], s[10:11], -v[60:61]
	v_fma_f64 v[60:61], v[100:101], s[10:11], v[60:61]
	v_fma_f64 v[36:37], v[92:93], s[8:9], -v[36:37]
	v_add_f64 v[0:1], v[4:5], v[0:1]
	v_mul_f64 v[88:89], v[8:9], s[24:25]
	v_add_f64 v[2:3], v[6:7], v[2:3]
	v_mul_f64 v[90:91], v[8:9], s[46:47]
	v_mul_f64 v[171:172], v[10:11], s[46:47]
	;; [unrolled: 1-line block ×13, first 2 shown]
	v_fma_f64 v[155:156], v[12:13], s[8:9], v[88:89]
	v_fma_f64 v[88:89], v[12:13], s[8:9], -v[88:89]
	scratch_store_b128 off, v[0:3], off offset:84 ; 16-byte Folded Spill
	v_fma_f64 v[157:158], v[12:13], s[10:11], v[90:91]
	v_fma_f64 v[185:186], v[14:15], s[10:11], -v[171:172]
	v_fma_f64 v[159:160], v[12:13], s[16:17], v[136:137]
	v_fma_f64 v[187:188], v[14:15], s[16:17], -v[173:174]
	v_fma_f64 v[161:162], v[12:13], s[18:19], -v[138:139]
	v_fma_f64 v[138:139], v[12:13], s[18:19], v[138:139]
	v_fma_f64 v[189:190], v[14:15], s[18:19], v[175:176]
	v_fma_f64 v[175:176], v[14:15], s[18:19], -v[175:176]
	v_fma_f64 v[163:164], v[12:13], s[20:21], -v[149:150]
	v_fma_f64 v[149:150], v[12:13], s[20:21], v[149:150]
	v_fma_f64 v[192:193], v[14:15], s[20:21], v[177:178]
	v_fma_f64 v[177:178], v[14:15], s[20:21], -v[177:178]
	v_fma_f64 v[151:152], v[12:13], s[0:1], v[4:5]
	v_fma_f64 v[4:5], v[12:13], s[0:1], -v[4:5]
	;; [unrolled: 2-line block ×3, first 2 shown]
	v_fma_f64 v[90:91], v[12:13], s[10:11], -v[90:91]
	v_fma_f64 v[136:137], v[12:13], s[16:17], -v[136:137]
	;; [unrolled: 1-line block ×3, first 2 shown]
	v_fma_f64 v[8:9], v[12:13], s[22:23], v[8:9]
	v_mul_f64 v[12:13], v[10:11], s[30:31]
	v_mul_f64 v[10:11], v[10:11], s[28:29]
	v_fma_f64 v[181:182], v[14:15], s[2:3], -v[167:168]
	v_fma_f64 v[167:168], v[14:15], s[2:3], v[167:168]
	v_fma_f64 v[183:184], v[14:15], s[8:9], -v[169:170]
	v_fma_f64 v[169:170], v[14:15], s[8:9], v[169:170]
	v_fma_f64 v[171:172], v[14:15], s[10:11], v[171:172]
	;; [unrolled: 1-line block ×3, first 2 shown]
	v_add_f64 v[155:156], v[86:87], v[155:156]
	v_add_f64 v[0:1], v[86:87], v[88:89]
	;; [unrolled: 1-line block ×8, first 2 shown]
	v_fma_f64 v[179:180], v[14:15], s[0:1], -v[12:13]
	v_fma_f64 v[12:13], v[14:15], s[0:1], v[12:13]
	v_fma_f64 v[194:195], v[14:15], s[22:23], v[10:11]
	v_fma_f64 v[10:11], v[14:15], s[22:23], -v[10:11]
	v_add_f64 v[14:15], v[86:87], v[151:152]
	v_add_f64 v[181:182], v[84:85], v[181:182]
	;; [unrolled: 1-line block ×7, first 2 shown]
	v_mul_f64 v[173:174], v[132:133], s[42:43]
	scratch_store_b64 off, v[0:1], off offset:260 ; 8-byte Folded Spill
	v_add_f64 v[0:1], v[86:87], v[157:158]
	v_add_f64 v[157:158], v[86:87], v[163:164]
	;; [unrolled: 1-line block ×7, first 2 shown]
	scratch_store_b64 off, v[0:1], off offset:236 ; 8-byte Folded Spill
	v_add_f64 v[0:1], v[84:85], v[185:186]
	v_mul_f64 v[185:186], v[122:123], s[30:31]
	scratch_store_b64 off, v[0:1], off offset:228 ; 8-byte Folded Spill
	v_add_f64 v[0:1], v[86:87], v[159:160]
	v_add_f64 v[159:160], v[86:87], v[165:166]
	;; [unrolled: 1-line block ×3, first 2 shown]
	v_mov_b32_e32 v193, v148
	scratch_store_b64 off, v[0:1], off offset:204 ; 8-byte Folded Spill
	v_add_f64 v[0:1], v[84:85], v[187:188]
	v_mul_f64 v[187:188], v[126:127], s[34:35]
	scratch_store_b64 off, v[0:1], off offset:196 ; 8-byte Folded Spill
	v_add_f64 v[0:1], v[86:87], v[138:139]
	scratch_store_b64 off, v[0:1], off offset:188 ; 8-byte Folded Spill
	v_add_f64 v[0:1], v[84:85], v[175:176]
	v_mul_f64 v[175:176], v[128:129], s[38:39]
	scratch_store_b64 off, v[0:1], off offset:180 ; 8-byte Folded Spill
	v_add_f64 v[0:1], v[86:87], v[149:150]
	scratch_store_b64 off, v[0:1], off offset:156 ; 8-byte Folded Spill
	v_add_f64 v[0:1], v[84:85], v[177:178]
	;; [unrolled: 2-line block ×3, first 2 shown]
	v_mul_f64 v[8:9], v[134:135], s[40:41]
	v_fma_f64 v[86:87], v[16:17], s[22:23], v[68:69]
	scratch_store_b64 off, v[0:1], off offset:140 ; 8-byte Folded Spill
	v_fma_f64 v[4:5], v[94:95], s[22:23], v[8:9]
	v_add_f64 v[0:1], v[84:85], v[10:11]
	v_mul_f64 v[10:11], v[132:133], s[40:41]
	v_fma_f64 v[8:9], v[94:95], s[22:23], -v[8:9]
	v_mul_f64 v[84:85], v[130:131], s[24:25]
	v_add_f64 v[4:5], v[4:5], v[14:15]
	v_mul_f64 v[14:15], v[130:131], s[38:39]
	v_fma_f64 v[6:7], v[92:93], s[22:23], -v[10:11]
	v_fma_f64 v[10:11], v[92:93], s[22:23], v[10:11]
	v_add_f64 v[8:9], v[8:9], v[179:180]
	scratch_store_b64 off, v[0:1], off offset:132 ; 8-byte Folded Spill
	v_fma_f64 v[136:137], v[100:101], s[2:3], v[14:15]
	v_add_f64 v[6:7], v[6:7], v[151:152]
	v_add_f64 v[10:11], v[10:11], v[12:13]
	v_fma_f64 v[12:13], v[100:101], s[2:3], -v[14:15]
	v_fma_f64 v[14:15], v[120:121], s[16:17], v[218:219]
	v_add_f64 v[4:5], v[136:137], v[4:5]
	v_mul_f64 v[136:137], v[98:99], s[38:39]
	s_delay_alu instid0(VALU_DEP_4) | instskip(NEXT) | instid1(VALU_DEP_2)
	v_add_f64 v[8:9], v[12:13], v[8:9]
	v_fma_f64 v[138:139], v[96:97], s[2:3], -v[136:137]
	v_fma_f64 v[12:13], v[96:97], s[2:3], v[136:137]
	v_mul_f64 v[136:137], v[134:135], s[44:45]
	s_delay_alu instid0(VALU_DEP_3) | instskip(SKIP_1) | instid1(VALU_DEP_4)
	v_add_f64 v[6:7], v[138:139], v[6:7]
	v_mul_f64 v[138:139], v[106:107], s[34:35]
	v_add_f64 v[10:11], v[12:13], v[10:11]
	s_delay_alu instid0(VALU_DEP_2) | instskip(SKIP_2) | instid1(VALU_DEP_3)
	v_fma_f64 v[149:150], v[18:19], s[20:21], v[138:139]
	v_fma_f64 v[12:13], v[18:19], s[20:21], -v[138:139]
	v_mul_f64 v[138:139], v[132:133], s[44:45]
	v_add_f64 v[4:5], v[149:150], v[4:5]
	v_mul_f64 v[149:150], v[102:103], s[34:35]
	s_delay_alu instid0(VALU_DEP_4) | instskip(NEXT) | instid1(VALU_DEP_2)
	v_add_f64 v[8:9], v[12:13], v[8:9]
	v_fma_f64 v[151:152], v[16:17], s[20:21], -v[149:150]
	v_fma_f64 v[12:13], v[16:17], s[20:21], v[149:150]
	v_mul_f64 v[149:150], v[130:131], s[42:43]
	s_delay_alu instid0(VALU_DEP_3) | instskip(SKIP_1) | instid1(VALU_DEP_4)
	v_add_f64 v[6:7], v[151:152], v[6:7]
	v_mul_f64 v[151:152], v[110:111], s[24:25]
	v_add_f64 v[10:11], v[12:13], v[10:11]
	s_delay_alu instid0(VALU_DEP_2) | instskip(SKIP_3) | instid1(VALU_DEP_4)
	v_fma_f64 v[177:178], v[22:23], s[8:9], v[151:152]
	v_fma_f64 v[12:13], v[22:23], s[8:9], -v[151:152]
	v_fma_f64 v[151:152], v[100:101], s[16:17], v[149:150]
	v_fma_f64 v[149:150], v[100:101], s[16:17], -v[149:150]
	v_add_f64 v[4:5], v[177:178], v[4:5]
	v_mul_f64 v[177:178], v[104:105], s[24:25]
	v_add_f64 v[8:9], v[12:13], v[8:9]
	s_delay_alu instid0(VALU_DEP_2) | instskip(SKIP_1) | instid1(VALU_DEP_2)
	v_fma_f64 v[194:195], v[20:21], s[8:9], -v[177:178]
	v_fma_f64 v[12:13], v[20:21], s[8:9], v[177:178]
	v_add_f64 v[6:7], v[194:195], v[6:7]
	v_mul_f64 v[194:195], v[128:129], s[44:45]
	s_delay_alu instid0(VALU_DEP_3) | instskip(NEXT) | instid1(VALU_DEP_2)
	v_add_f64 v[10:11], v[12:13], v[10:11]
	v_fma_f64 v[208:209], v[26:27], s[18:19], v[194:195]
	v_fma_f64 v[12:13], v[26:27], s[18:19], -v[194:195]
	s_delay_alu instid0(VALU_DEP_2) | instskip(SKIP_1) | instid1(VALU_DEP_3)
	v_add_f64 v[4:5], v[208:209], v[4:5]
	v_mul_f64 v[208:209], v[108:109], s[44:45]
	v_add_f64 v[8:9], v[12:13], v[8:9]
	s_delay_alu instid0(VALU_DEP_2) | instskip(SKIP_1) | instid1(VALU_DEP_2)
	v_fma_f64 v[210:211], v[24:25], s[18:19], -v[208:209]
	v_fma_f64 v[12:13], v[24:25], s[18:19], v[208:209]
	v_add_f64 v[6:7], v[210:211], v[6:7]
	v_mul_f64 v[210:211], v[118:119], s[46:47]
	s_delay_alu instid0(VALU_DEP_3) | instskip(NEXT) | instid1(VALU_DEP_2)
	v_add_f64 v[10:11], v[12:13], v[10:11]
	v_fma_f64 v[212:213], v[116:117], s[10:11], v[210:211]
	v_fma_f64 v[12:13], v[116:117], s[10:11], -v[210:211]
	s_delay_alu instid0(VALU_DEP_2) | instskip(SKIP_1) | instid1(VALU_DEP_3)
	v_add_f64 v[4:5], v[212:213], v[4:5]
	v_mul_f64 v[212:213], v[114:115], s[46:47]
	v_add_f64 v[8:9], v[12:13], v[8:9]
	s_delay_alu instid0(VALU_DEP_2) | instskip(SKIP_1) | instid1(VALU_DEP_2)
	v_fma_f64 v[214:215], v[112:113], s[10:11], -v[212:213]
	v_fma_f64 v[12:13], v[112:113], s[10:11], v[212:213]
	v_add_f64 v[214:215], v[214:215], v[6:7]
	v_fma_f64 v[6:7], v[124:125], s[16:17], v[216:217]
	s_delay_alu instid0(VALU_DEP_3) | instskip(SKIP_2) | instid1(VALU_DEP_4)
	v_add_f64 v[12:13], v[12:13], v[10:11]
	v_fma_f64 v[10:11], v[124:125], s[16:17], -v[216:217]
	v_mul_f64 v[216:217], v[126:127], s[46:47]
	v_add_f64 v[2:3], v[6:7], v[4:5]
	v_fma_f64 v[4:5], v[120:121], s[16:17], -v[218:219]
	v_mul_f64 v[218:219], v[122:123], s[46:47]
	s_delay_alu instid0(VALU_DEP_2)
	v_add_f64 v[0:1], v[4:5], v[214:215]
	v_mul_f64 v[4:5], v[126:127], s[44:45]
	scratch_store_b128 off, v[0:3], off offset:100 ; 16-byte Folded Spill
	v_add_f64 v[0:1], v[14:15], v[12:13]
	v_fma_f64 v[12:13], v[94:95], s[18:19], v[136:137]
	v_fma_f64 v[14:15], v[92:93], s[18:19], -v[138:139]
	v_fma_f64 v[136:137], v[94:95], s[18:19], -v[136:137]
	v_fma_f64 v[138:139], v[92:93], s[18:19], v[138:139]
	v_add_f64 v[2:3], v[10:11], v[8:9]
	v_mul_f64 v[8:9], v[122:123], s[44:45]
	v_add_f64 v[12:13], v[12:13], v[153:154]
	v_add_f64 v[14:15], v[14:15], v[181:182]
	;; [unrolled: 1-line block ×4, first 2 shown]
	scratch_store_b128 off, v[0:3], off offset:116 ; 16-byte Folded Spill
	v_mul_f64 v[196:197], v[102:103], s[38:39]
	v_add_f64 v[12:13], v[151:152], v[12:13]
	v_mul_f64 v[151:152], v[98:99], s[42:43]
	v_add_f64 v[136:137], v[149:150], v[136:137]
	s_delay_alu instid0(VALU_DEP_2) | instskip(SKIP_2) | instid1(VALU_DEP_3)
	v_fma_f64 v[153:154], v[96:97], s[16:17], -v[151:152]
	v_fma_f64 v[149:150], v[96:97], s[16:17], v[151:152]
	v_fma_f64 v[151:152], v[120:121], s[10:11], v[218:219]
	v_add_f64 v[14:15], v[153:154], v[14:15]
	v_mul_f64 v[153:154], v[106:107], s[50:51]
	s_delay_alu instid0(VALU_DEP_4) | instskip(NEXT) | instid1(VALU_DEP_2)
	v_add_f64 v[138:139], v[149:150], v[138:139]
	v_fma_f64 v[177:178], v[18:19], s[8:9], v[153:154]
	v_fma_f64 v[149:150], v[18:19], s[8:9], -v[153:154]
	s_delay_alu instid0(VALU_DEP_2) | instskip(SKIP_1) | instid1(VALU_DEP_3)
	v_add_f64 v[12:13], v[177:178], v[12:13]
	v_mul_f64 v[177:178], v[102:103], s[50:51]
	v_add_f64 v[136:137], v[149:150], v[136:137]
	s_delay_alu instid0(VALU_DEP_2) | instskip(SKIP_2) | instid1(VALU_DEP_3)
	v_fma_f64 v[179:180], v[16:17], s[8:9], -v[177:178]
	v_fma_f64 v[149:150], v[16:17], s[8:9], v[177:178]
	v_mul_f64 v[177:178], v[134:135], s[52:53]
	v_add_f64 v[14:15], v[179:180], v[14:15]
	v_mul_f64 v[179:180], v[110:111], s[28:29]
	s_delay_alu instid0(VALU_DEP_4) | instskip(NEXT) | instid1(VALU_DEP_2)
	v_add_f64 v[138:139], v[149:150], v[138:139]
	v_fma_f64 v[181:182], v[22:23], s[22:23], v[179:180]
	v_fma_f64 v[149:150], v[22:23], s[22:23], -v[179:180]
	v_mul_f64 v[179:180], v[132:133], s[52:53]
	s_delay_alu instid0(VALU_DEP_3) | instskip(SKIP_1) | instid1(VALU_DEP_4)
	v_add_f64 v[12:13], v[181:182], v[12:13]
	v_mul_f64 v[181:182], v[104:105], s[28:29]
	v_add_f64 v[136:137], v[149:150], v[136:137]
	s_delay_alu instid0(VALU_DEP_2) | instskip(SKIP_2) | instid1(VALU_DEP_3)
	v_fma_f64 v[194:195], v[20:21], s[22:23], -v[181:182]
	v_fma_f64 v[149:150], v[20:21], s[22:23], v[181:182]
	v_mul_f64 v[181:182], v[130:131], s[28:29]
	v_add_f64 v[14:15], v[194:195], v[14:15]
	v_mul_f64 v[194:195], v[128:129], s[30:31]
	s_delay_alu instid0(VALU_DEP_4) | instskip(NEXT) | instid1(VALU_DEP_4)
	v_add_f64 v[138:139], v[149:150], v[138:139]
	v_fma_f64 v[153:154], v[100:101], s[22:23], v[181:182]
	s_delay_alu instid0(VALU_DEP_3) | instskip(SKIP_2) | instid1(VALU_DEP_3)
	v_fma_f64 v[208:209], v[26:27], s[0:1], v[194:195]
	v_fma_f64 v[149:150], v[26:27], s[0:1], -v[194:195]
	v_mul_f64 v[194:195], v[106:107], s[38:39]
	v_add_f64 v[12:13], v[208:209], v[12:13]
	v_mul_f64 v[208:209], v[108:109], s[30:31]
	s_delay_alu instid0(VALU_DEP_4) | instskip(NEXT) | instid1(VALU_DEP_2)
	v_add_f64 v[136:137], v[149:150], v[136:137]
	v_fma_f64 v[210:211], v[24:25], s[0:1], -v[208:209]
	v_fma_f64 v[149:150], v[24:25], s[0:1], v[208:209]
	v_mul_f64 v[208:209], v[110:111], s[26:27]
	s_delay_alu instid0(VALU_DEP_3) | instskip(SKIP_1) | instid1(VALU_DEP_4)
	v_add_f64 v[14:15], v[210:211], v[14:15]
	v_mul_f64 v[210:211], v[118:119], s[34:35]
	v_add_f64 v[138:139], v[149:150], v[138:139]
	s_delay_alu instid0(VALU_DEP_2) | instskip(SKIP_2) | instid1(VALU_DEP_3)
	v_fma_f64 v[212:213], v[116:117], s[20:21], v[210:211]
	v_fma_f64 v[149:150], v[116:117], s[20:21], -v[210:211]
	v_mul_f64 v[210:211], v[104:105], s[26:27]
	v_add_f64 v[12:13], v[212:213], v[12:13]
	v_mul_f64 v[212:213], v[114:115], s[34:35]
	s_delay_alu instid0(VALU_DEP_4) | instskip(NEXT) | instid1(VALU_DEP_2)
	v_add_f64 v[136:137], v[149:150], v[136:137]
	v_fma_f64 v[214:215], v[112:113], s[20:21], -v[212:213]
	v_fma_f64 v[149:150], v[112:113], s[20:21], v[212:213]
	v_mul_f64 v[212:213], v[128:129], s[48:49]
	s_delay_alu instid0(VALU_DEP_3) | instskip(SKIP_1) | instid1(VALU_DEP_4)
	v_add_f64 v[214:215], v[214:215], v[14:15]
	v_fma_f64 v[14:15], v[124:125], s[10:11], v[216:217]
	v_add_f64 v[149:150], v[149:150], v[138:139]
	v_fma_f64 v[138:139], v[124:125], s[10:11], -v[216:217]
	v_mul_f64 v[216:217], v[118:119], s[30:31]
	s_delay_alu instid0(VALU_DEP_4) | instskip(SKIP_2) | instid1(VALU_DEP_2)
	v_add_f64 v[2:3], v[14:15], v[12:13]
	v_fma_f64 v[12:13], v[120:121], s[10:11], -v[218:219]
	v_mul_f64 v[218:219], v[114:115], s[30:31]
	v_add_f64 v[0:1], v[12:13], v[214:215]
	v_mul_f64 v[214:215], v[108:109], s[48:49]
	v_mul_f64 v[12:13], v[126:127], s[40:41]
	scratch_store_b128 off, v[0:3], off offset:164 ; 16-byte Folded Spill
	v_add_f64 v[0:1], v[151:152], v[149:150]
	v_fma_f64 v[149:150], v[94:95], s[10:11], v[177:178]
	v_fma_f64 v[151:152], v[92:93], s[10:11], -v[179:180]
	v_add_f64 v[2:3], v[138:139], v[136:137]
	v_dual_mov_b32 v139, v75 :: v_dual_mov_b32 v138, v74
	v_dual_mov_b32 v137, v73 :: v_dual_mov_b32 v136, v72
	v_mul_f64 v[74:75], v[102:103], s[30:31]
	v_fma_f64 v[34:35], v[124:125], s[22:23], -v[12:13]
	v_mul_f64 v[72:73], v[114:115], s[50:51]
	v_add_f64 v[149:150], v[149:150], v[155:156]
	v_add_f64 v[151:152], v[151:152], v[183:184]
	v_mul_f64 v[183:184], v[98:99], s[28:29]
	scratch_store_b128 off, v[0:3], off offset:212 ; 16-byte Folded Spill
	v_add_f64 v[149:150], v[153:154], v[149:150]
	v_fma_f64 v[153:154], v[96:97], s[22:23], -v[183:184]
	s_delay_alu instid0(VALU_DEP_1) | instskip(SKIP_1) | instid1(VALU_DEP_1)
	v_add_f64 v[151:152], v[153:154], v[151:152]
	v_fma_f64 v[153:154], v[18:19], s[2:3], v[194:195]
	v_add_f64 v[149:150], v[153:154], v[149:150]
	v_fma_f64 v[153:154], v[16:17], s[2:3], -v[196:197]
	s_delay_alu instid0(VALU_DEP_1) | instskip(SKIP_1) | instid1(VALU_DEP_1)
	v_add_f64 v[151:152], v[153:154], v[151:152]
	v_fma_f64 v[153:154], v[22:23], s[16:17], v[208:209]
	;; [unrolled: 5-line block ×5, first 2 shown]
	v_add_f64 v[2:3], v[151:152], v[149:150]
	v_fma_f64 v[149:150], v[120:121], s[18:19], -v[8:9]
	v_mul_f64 v[151:152], v[128:129], s[52:53]
	s_delay_alu instid0(VALU_DEP_2) | instskip(NEXT) | instid1(VALU_DEP_2)
	v_add_f64 v[0:1], v[149:150], v[153:154]
	v_fma_f64 v[14:15], v[26:27], s[10:11], -v[151:152]
	v_mov_b32_e32 v150, v232
	scratch_store_b128 off, v[0:3], off offset:244 ; 16-byte Folded Spill
	v_mul_f64 v[0:1], v[134:135], s[48:49]
	scratch_store_b64 off, v[0:1], off offset:268 ; 8-byte Folded Spill
	v_fma_f64 v[153:154], v[94:95], s[20:21], -v[0:1]
	v_mul_f64 v[0:1], v[132:133], s[48:49]
	s_delay_alu instid0(VALU_DEP_2) | instskip(SKIP_3) | instid1(VALU_DEP_2)
	v_add_f64 v[153:154], v[153:154], v[159:160]
	scratch_store_b64 off, v[0:1], off offset:276 ; 8-byte Folded Spill
	v_fma_f64 v[155:156], v[92:93], s[20:21], v[0:1]
	v_mul_f64 v[0:1], v[130:131], s[36:37]
	v_add_f64 v[155:156], v[155:156], v[163:164]
	scratch_store_b64 off, v[0:1], off offset:284 ; 8-byte Folded Spill
	v_fma_f64 v[159:160], v[100:101], s[18:19], -v[0:1]
	v_mul_f64 v[0:1], v[98:99], s[36:37]
	v_fma_f64 v[163:164], v[100:101], s[8:9], -v[84:85]
	s_delay_alu instid0(VALU_DEP_3) | instskip(SKIP_3) | instid1(VALU_DEP_2)
	v_add_f64 v[153:154], v[159:160], v[153:154]
	scratch_store_b64 off, v[0:1], off offset:292 ; 8-byte Folded Spill
	v_fma_f64 v[159:160], v[96:97], s[18:19], v[0:1]
	v_mul_f64 v[0:1], v[106:107], s[42:43]
	v_add_f64 v[155:156], v[159:160], v[155:156]
	scratch_store_b64 off, v[0:1], off offset:300 ; 8-byte Folded Spill
	v_fma_f64 v[159:160], v[18:19], s[16:17], -v[0:1]
	v_mul_f64 v[0:1], v[102:103], s[42:43]
	v_fma_f64 v[102:103], v[16:17], s[18:19], v[76:77]
	v_fma_f64 v[76:77], v[16:17], s[18:19], -v[76:77]
	s_delay_alu instid0(VALU_DEP_4) | instskip(SKIP_3) | instid1(VALU_DEP_2)
	v_add_f64 v[153:154], v[159:160], v[153:154]
	scratch_store_b64 off, v[0:1], off offset:308 ; 8-byte Folded Spill
	v_fma_f64 v[159:160], v[16:17], s[16:17], v[0:1]
	v_mul_f64 v[0:1], v[110:111], s[46:47]
	v_add_f64 v[155:156], v[159:160], v[155:156]
	scratch_store_b64 off, v[0:1], off offset:316 ; 8-byte Folded Spill
	v_fma_f64 v[159:160], v[22:23], s[10:11], -v[0:1]
	v_mul_f64 v[0:1], v[104:105], s[46:47]
	s_mov_b32 s47, 0x3fe0d888
	s_mov_b32 s46, s38
	s_delay_alu instid0(SALU_CYCLE_1) | instskip(SKIP_1) | instid1(VALU_DEP_4)
	v_mul_f64 v[28:29], v[110:111], s[46:47]
	v_mul_f64 v[148:149], v[104:105], s[46:47]
	v_add_f64 v[153:154], v[159:160], v[153:154]
	scratch_store_b64 off, v[0:1], off offset:324 ; 8-byte Folded Spill
	v_fma_f64 v[159:160], v[20:21], s[10:11], v[0:1]
	v_mul_f64 v[0:1], v[128:129], s[24:25]
	v_fma_f64 v[6:7], v[22:23], s[2:3], -v[28:29]
	v_fma_f64 v[10:11], v[20:21], s[2:3], v[148:149]
	v_fma_f64 v[28:29], v[22:23], s[2:3], v[28:29]
	v_add_f64 v[155:156], v[159:160], v[155:156]
	scratch_store_b64 off, v[0:1], off offset:332 ; 8-byte Folded Spill
	v_fma_f64 v[159:160], v[26:27], s[8:9], -v[0:1]
	v_mul_f64 v[0:1], v[108:109], s[24:25]
	s_delay_alu instid0(VALU_DEP_2) | instskip(SKIP_3) | instid1(VALU_DEP_2)
	v_add_f64 v[153:154], v[159:160], v[153:154]
	scratch_store_b64 off, v[0:1], off offset:340 ; 8-byte Folded Spill
	v_fma_f64 v[159:160], v[24:25], s[8:9], v[0:1]
	v_mul_f64 v[0:1], v[118:119], s[38:39]
	v_add_f64 v[155:156], v[159:160], v[155:156]
	scratch_store_b64 off, v[0:1], off offset:348 ; 8-byte Folded Spill
	v_fma_f64 v[159:160], v[116:117], s[2:3], -v[0:1]
	s_clause 0x1
	scratch_store_b32 off, v140, off offset:60
	scratch_store_b32 off, v191, off offset:68
	v_mul_f64 v[191:192], v[114:115], s[38:39]
	scratch_store_b32 off, v255, off offset:76 ; 4-byte Folded Spill
	v_mul_f64 v[254:255], v[98:99], s[24:25]
	v_dual_mov_b32 v140, v143 :: v_dual_mov_b32 v143, v233
	v_mul_f64 v[232:233], v[114:115], s[44:45]
	s_mov_b32 s45, 0x3fc7851a
	s_mov_b32 s44, s30
	v_dual_mov_b32 v0, v80 :: v_dual_mov_b32 v1, v81
	v_mul_f64 v[40:41], v[98:99], s[44:45]
	v_mul_f64 v[189:190], v[130:131], s[44:45]
	v_dual_mov_b32 v2, v82 :: v_dual_mov_b32 v3, v83
	v_dual_mov_b32 v83, v67 :: v_dual_mov_b32 v82, v66
	;; [unrolled: 1-line block ×3, first 2 shown]
	v_mul_f64 v[64:65], v[98:99], s[52:53]
	v_mul_f64 v[130:131], v[130:131], s[34:35]
	;; [unrolled: 1-line block ×4, first 2 shown]
	v_add_f64 v[153:154], v[159:160], v[153:154]
	v_fma_f64 v[159:160], v[112:113], s[2:3], v[191:192]
	v_fma_f64 v[42:43], v[96:97], s[0:1], v[40:41]
	;; [unrolled: 1-line block ×3, first 2 shown]
	v_fma_f64 v[64:65], v[96:97], s[10:11], -v[64:65]
	s_delay_alu instid0(VALU_DEP_4) | instskip(SKIP_3) | instid1(VALU_DEP_3)
	v_add_f64 v[159:160], v[159:160], v[155:156]
	v_fma_f64 v[155:156], v[124:125], s[0:1], -v[242:243]
	v_add_f64 v[38:39], v[42:43], v[38:39]
	v_mul_f64 v[42:43], v[106:107], s[52:53]
	v_add_f64 v[155:156], v[155:156], v[153:154]
	v_fma_f64 v[153:154], v[120:121], s[0:1], v[185:186]
	s_delay_alu instid0(VALU_DEP_4) | instskip(SKIP_1) | instid1(VALU_DEP_3)
	v_add_f64 v[38:39], v[46:47], v[38:39]
	v_mul_f64 v[46:47], v[110:111], s[34:35]
	v_add_f64 v[153:154], v[153:154], v[159:160]
	v_fma_f64 v[159:160], v[94:95], s[16:17], -v[252:253]
	s_delay_alu instid0(VALU_DEP_4) | instskip(SKIP_2) | instid1(VALU_DEP_4)
	v_add_f64 v[38:39], v[50:51], v[38:39]
	v_mul_f64 v[50:51], v[128:129], s[28:29]
	v_mul_f64 v[128:129], v[128:129], s[26:27]
	v_add_f64 v[157:158], v[159:160], v[157:158]
	v_fma_f64 v[159:160], v[92:93], s[16:17], v[173:174]
	v_add_f64 v[38:39], v[54:55], v[38:39]
	v_mul_f64 v[54:55], v[118:119], s[42:43]
	v_mul_f64 v[118:119], v[118:119], s[28:29]
	v_add_f64 v[157:158], v[163:164], v[157:158]
	v_add_f64 v[159:160], v[159:160], v[165:166]
	v_fma_f64 v[163:164], v[96:97], s[8:9], v[254:255]
	v_add_f64 v[38:39], v[58:59], v[38:39]
	v_mul_f64 v[58:59], v[126:127], s[38:39]
	v_mul_f64 v[126:127], v[126:127], s[24:25]
	s_delay_alu instid0(VALU_DEP_4) | instskip(SKIP_1) | instid1(VALU_DEP_1)
	v_add_f64 v[159:160], v[163:164], v[159:160]
	v_fma_f64 v[163:164], v[18:19], s[0:1], -v[78:79]
	v_add_f64 v[157:158], v[163:164], v[157:158]
	v_fma_f64 v[163:164], v[16:17], s[0:1], v[74:75]
	s_delay_alu instid0(VALU_DEP_2) | instskip(NEXT) | instid1(VALU_DEP_2)
	v_add_f64 v[6:7], v[6:7], v[157:158]
	v_add_f64 v[159:160], v[163:164], v[159:160]
	s_delay_alu instid0(VALU_DEP_2) | instskip(SKIP_1) | instid1(VALU_DEP_3)
	v_add_f64 v[6:7], v[14:15], v[6:7]
	v_mul_f64 v[14:15], v[108:109], s[52:53]
	v_add_f64 v[10:11], v[10:11], v[159:160]
	v_fma_f64 v[108:109], v[100:101], s[22:23], -v[181:182]
	s_delay_alu instid0(VALU_DEP_3) | instskip(SKIP_1) | instid1(VALU_DEP_2)
	v_fma_f64 v[157:158], v[24:25], s[10:11], v[14:15]
	v_fma_f64 v[14:15], v[24:25], s[10:11], -v[14:15]
	v_add_f64 v[10:11], v[157:158], v[10:11]
	v_fma_f64 v[157:158], v[116:117], s[18:19], -v[70:71]
	s_delay_alu instid0(VALU_DEP_1) | instskip(SKIP_1) | instid1(VALU_DEP_2)
	v_add_f64 v[6:7], v[157:158], v[6:7]
	v_fma_f64 v[157:158], v[112:113], s[18:19], v[232:233]
	v_add_f64 v[159:160], v[34:35], v[6:7]
	v_mul_f64 v[6:7], v[122:123], s[40:41]
	s_delay_alu instid0(VALU_DEP_3) | instskip(NEXT) | instid1(VALU_DEP_2)
	v_add_f64 v[10:11], v[157:158], v[10:11]
	v_fma_f64 v[34:35], v[120:121], s[22:23], v[6:7]
	v_fma_f64 v[6:7], v[120:121], s[22:23], -v[6:7]
	s_delay_alu instid0(VALU_DEP_2) | instskip(SKIP_1) | instid1(VALU_DEP_1)
	v_add_f64 v[157:158], v[34:35], v[10:11]
	v_mul_f64 v[10:11], v[134:135], s[24:25]
	v_fma_f64 v[34:35], v[94:95], s[8:9], -v[10:11]
	v_fma_f64 v[10:11], v[94:95], s[8:9], v[10:11]
	s_delay_alu instid0(VALU_DEP_2) | instskip(SKIP_1) | instid1(VALU_DEP_1)
	v_add_f64 v[34:35], v[34:35], v[161:162]
	v_fma_f64 v[161:162], v[100:101], s[0:1], -v[189:190]
	v_add_f64 v[34:35], v[161:162], v[34:35]
	v_fma_f64 v[161:162], v[18:19], s[10:11], -v[42:43]
	s_delay_alu instid0(VALU_DEP_1) | instskip(SKIP_1) | instid1(VALU_DEP_1)
	v_add_f64 v[34:35], v[161:162], v[34:35]
	v_fma_f64 v[161:162], v[22:23], s[20:21], -v[46:47]
	v_add_f64 v[34:35], v[161:162], v[34:35]
	v_fma_f64 v[161:162], v[26:27], s[22:23], -v[50:51]
	s_delay_alu instid0(VALU_DEP_1) | instskip(SKIP_1) | instid1(VALU_DEP_1)
	;; [unrolled: 5-line block ×3, first 2 shown]
	v_add_f64 v[163:164], v[161:162], v[34:35]
	v_mul_f64 v[34:35], v[122:123], s[38:39]
	v_fma_f64 v[161:162], v[120:121], s[2:3], v[34:35]
	v_fma_f64 v[34:35], v[120:121], s[2:3], -v[34:35]
	s_delay_alu instid0(VALU_DEP_2) | instskip(SKIP_1) | instid1(VALU_DEP_1)
	v_add_f64 v[161:162], v[161:162], v[38:39]
	v_mul_f64 v[38:39], v[134:135], s[30:31]
	v_fma_f64 v[165:166], v[94:95], s[0:1], -v[38:39]
	v_fma_f64 v[38:39], v[94:95], s[0:1], v[38:39]
	s_delay_alu instid0(VALU_DEP_2) | instskip(SKIP_2) | instid1(VALU_DEP_3)
	v_add_f64 v[165:166], v[165:166], v[206:207]
	v_mul_f64 v[206:207], v[132:133], s[30:31]
	v_mul_f64 v[132:133], v[132:133], s[46:47]
	v_add_f64 v[62:63], v[62:63], v[165:166]
	s_delay_alu instid0(VALU_DEP_3) | instskip(NEXT) | instid1(VALU_DEP_1)
	v_fma_f64 v[167:168], v[92:93], s[0:1], v[206:207]
	v_add_f64 v[88:89], v[167:168], v[88:89]
	s_delay_alu instid0(VALU_DEP_1) | instskip(SKIP_1) | instid1(VALU_DEP_2)
	v_add_f64 v[66:67], v[66:67], v[88:89]
	v_mul_f64 v[88:89], v[106:107], s[40:41]
	v_add_f64 v[66:67], v[86:87], v[66:67]
	s_delay_alu instid0(VALU_DEP_2) | instskip(SKIP_2) | instid1(VALU_DEP_3)
	v_fma_f64 v[165:166], v[18:19], s[22:23], -v[88:89]
	v_mul_f64 v[86:87], v[110:111], s[36:37]
	v_mul_f64 v[110:111], v[110:111], s[30:31]
	v_add_f64 v[62:63], v[165:166], v[62:63]
	s_delay_alu instid0(VALU_DEP_3) | instskip(NEXT) | instid1(VALU_DEP_1)
	v_fma_f64 v[165:166], v[22:23], s[18:19], -v[86:87]
	v_add_f64 v[62:63], v[165:166], v[62:63]
	v_fma_f64 v[165:166], v[20:21], s[18:19], v[234:235]
	s_delay_alu instid0(VALU_DEP_1) | instskip(SKIP_1) | instid1(VALU_DEP_1)
	v_add_f64 v[66:67], v[165:166], v[66:67]
	v_fma_f64 v[165:166], v[26:27], s[2:3], -v[175:176]
	v_add_f64 v[62:63], v[165:166], v[62:63]
	v_fma_f64 v[165:166], v[24:25], s[2:3], v[236:237]
	s_delay_alu instid0(VALU_DEP_1) | instskip(SKIP_1) | instid1(VALU_DEP_1)
	v_add_f64 v[66:67], v[165:166], v[66:67]
	;; [unrolled: 5-line block ×3, first 2 shown]
	v_fma_f64 v[165:166], v[124:125], s[20:21], -v[187:188]
	v_add_f64 v[167:168], v[165:166], v[62:63]
	v_mul_f64 v[62:63], v[122:123], s[34:35]
	v_mul_f64 v[122:123], v[122:123], s[24:25]
	s_delay_alu instid0(VALU_DEP_2) | instskip(SKIP_1) | instid1(VALU_DEP_2)
	v_fma_f64 v[165:166], v[120:121], s[20:21], v[62:63]
	v_fma_f64 v[62:63], v[120:121], s[20:21], -v[62:63]
	v_add_f64 v[165:166], v[165:166], v[66:67]
	v_mul_f64 v[66:67], v[134:135], s[46:47]
	s_delay_alu instid0(VALU_DEP_1) | instskip(SKIP_1) | instid1(VALU_DEP_2)
	v_fma_f64 v[134:135], v[94:95], s[2:3], -v[66:67]
	v_fma_f64 v[66:67], v[94:95], s[2:3], v[66:67]
	v_add_f64 v[90:91], v[134:135], v[90:91]
	v_fma_f64 v[134:135], v[92:93], s[2:3], v[132:133]
	s_delay_alu instid0(VALU_DEP_1) | instskip(SKIP_2) | instid1(VALU_DEP_2)
	v_add_f64 v[134:135], v[134:135], v[171:172]
	v_fma_f64 v[171:172], v[100:101], s[20:21], -v[130:131]
	v_fma_f64 v[130:131], v[100:101], s[20:21], v[130:131]
	v_add_f64 v[90:91], v[171:172], v[90:91]
	v_fma_f64 v[171:172], v[96:97], s[20:21], v[98:99]
	v_fma_f64 v[98:99], v[96:97], s[20:21], -v[98:99]
	s_delay_alu instid0(VALU_DEP_2) | instskip(SKIP_1) | instid1(VALU_DEP_2)
	v_add_f64 v[134:135], v[171:172], v[134:135]
	v_mul_f64 v[171:172], v[106:107], s[36:37]
	v_add_f64 v[102:103], v[102:103], v[134:135]
	s_delay_alu instid0(VALU_DEP_2) | instskip(SKIP_1) | instid1(VALU_DEP_2)
	v_fma_f64 v[106:107], v[18:19], s[18:19], -v[171:172]
	v_mul_f64 v[134:135], v[104:105], s[30:31]
	v_add_f64 v[90:91], v[106:107], v[90:91]
	v_fma_f64 v[106:107], v[22:23], s[0:1], -v[110:111]
	s_delay_alu instid0(VALU_DEP_3) | instskip(NEXT) | instid1(VALU_DEP_2)
	v_fma_f64 v[104:105], v[20:21], s[0:1], v[134:135]
	v_add_f64 v[90:91], v[106:107], v[90:91]
	scratch_load_b64 v[106:107], off, off offset:260 ; 8-byte Folded Reload
	v_add_f64 v[102:103], v[104:105], v[102:103]
	v_fma_f64 v[104:105], v[26:27], s[16:17], -v[128:129]
	s_delay_alu instid0(VALU_DEP_1) | instskip(SKIP_1) | instid1(VALU_DEP_1)
	v_add_f64 v[90:91], v[104:105], v[90:91]
	v_fma_f64 v[104:105], v[24:25], s[16:17], v[240:241]
	v_add_f64 v[102:103], v[104:105], v[102:103]
	v_fma_f64 v[104:105], v[116:117], s[22:23], -v[118:119]
	s_delay_alu instid0(VALU_DEP_1) | instskip(SKIP_1) | instid1(VALU_DEP_1)
	v_add_f64 v[90:91], v[104:105], v[90:91]
	v_fma_f64 v[104:105], v[112:113], s[22:23], v[114:115]
	;; [unrolled: 5-line block ×3, first 2 shown]
	v_add_f64 v[102:103], v[90:91], v[102:103]
	v_fma_f64 v[90:91], v[94:95], s[10:11], -v[177:178]
	s_waitcnt vmcnt(0)
	s_delay_alu instid0(VALU_DEP_1) | instskip(SKIP_1) | instid1(VALU_DEP_2)
	v_add_f64 v[90:91], v[90:91], v[106:107]
	v_fma_f64 v[106:107], v[92:93], s[10:11], v[179:180]
	v_add_f64 v[90:91], v[108:109], v[90:91]
	s_delay_alu instid0(VALU_DEP_2) | instskip(SKIP_2) | instid1(VALU_DEP_2)
	v_add_f64 v[106:107], v[106:107], v[169:170]
	v_fma_f64 v[108:109], v[96:97], s[22:23], v[183:184]
	v_fma_f64 v[169:170], v[120:121], s[18:19], v[8:9]
	v_add_f64 v[106:107], v[108:109], v[106:107]
	v_fma_f64 v[108:109], v[18:19], s[2:3], -v[194:195]
	s_delay_alu instid0(VALU_DEP_1) | instskip(SKIP_1) | instid1(VALU_DEP_1)
	v_add_f64 v[90:91], v[108:109], v[90:91]
	v_fma_f64 v[108:109], v[16:17], s[2:3], v[196:197]
	v_add_f64 v[106:107], v[108:109], v[106:107]
	v_fma_f64 v[108:109], v[22:23], s[16:17], -v[208:209]
	s_delay_alu instid0(VALU_DEP_1) | instskip(SKIP_4) | instid1(VALU_DEP_1)
	v_add_f64 v[90:91], v[108:109], v[90:91]
	v_fma_f64 v[108:109], v[20:21], s[16:17], v[210:211]
	scratch_load_b128 v[208:211], off, off offset:28 ; 16-byte Folded Reload
	v_add_f64 v[106:107], v[108:109], v[106:107]
	v_fma_f64 v[108:109], v[26:27], s[20:21], -v[212:213]
	v_add_f64 v[90:91], v[108:109], v[90:91]
	v_fma_f64 v[108:109], v[24:25], s[20:21], v[214:215]
	scratch_load_b128 v[212:215], off, off offset:44 ; 16-byte Folded Reload
	v_add_f64 v[106:107], v[108:109], v[106:107]
	v_fma_f64 v[108:109], v[116:117], s[0:1], -v[216:217]
	s_delay_alu instid0(VALU_DEP_1) | instskip(SKIP_3) | instid1(VALU_DEP_3)
	v_add_f64 v[90:91], v[108:109], v[90:91]
	v_fma_f64 v[108:109], v[112:113], s[0:1], v[218:219]
	v_dual_mov_b32 v219, v201 :: v_dual_mov_b32 v218, v200
	v_dual_mov_b32 v217, v199 :: v_dual_mov_b32 v216, v198
	v_add_f64 v[106:107], v[108:109], v[106:107]
	v_fma_f64 v[108:109], v[124:125], s[18:19], -v[4:5]
	scratch_load_b64 v[4:5], off, off offset:236 ; 8-byte Folded Reload
	v_add_f64 v[106:107], v[169:170], v[106:107]
	v_add_f64 v[108:109], v[108:109], v[90:91]
	v_fma_f64 v[90:91], v[92:93], s[2:3], -v[132:133]
	s_waitcnt vmcnt(0)
	v_add_f64 v[66:67], v[66:67], v[4:5]
	scratch_load_b64 v[4:5], off, off offset:228 ; 8-byte Folded Reload
	v_add_f64 v[66:67], v[130:131], v[66:67]
	s_waitcnt vmcnt(0)
	v_add_f64 v[90:91], v[90:91], v[4:5]
	scratch_load_b64 v[4:5], off, off offset:204 ; 8-byte Folded Reload
	v_add_f64 v[90:91], v[98:99], v[90:91]
	v_fma_f64 v[98:99], v[18:19], s[18:19], v[171:172]
	s_delay_alu instid0(VALU_DEP_2) | instskip(NEXT) | instid1(VALU_DEP_2)
	v_add_f64 v[76:77], v[76:77], v[90:91]
	v_add_f64 v[66:67], v[98:99], v[66:67]
	v_fma_f64 v[90:91], v[22:23], s[0:1], v[110:111]
	v_fma_f64 v[98:99], v[120:121], s[8:9], -v[122:123]
	s_delay_alu instid0(VALU_DEP_2) | instskip(SKIP_1) | instid1(VALU_DEP_1)
	v_add_f64 v[66:67], v[90:91], v[66:67]
	v_fma_f64 v[90:91], v[20:21], s[0:1], -v[134:135]
	v_add_f64 v[76:77], v[90:91], v[76:77]
	v_fma_f64 v[90:91], v[26:27], s[16:17], v[128:129]
	s_delay_alu instid0(VALU_DEP_1) | instskip(SKIP_1) | instid1(VALU_DEP_1)
	v_add_f64 v[66:67], v[90:91], v[66:67]
	v_fma_f64 v[90:91], v[24:25], s[16:17], -v[240:241]
	v_add_f64 v[76:77], v[90:91], v[76:77]
	v_fma_f64 v[90:91], v[116:117], s[22:23], v[118:119]
	s_delay_alu instid0(VALU_DEP_1) | instskip(SKIP_1) | instid1(VALU_DEP_1)
	v_add_f64 v[66:67], v[90:91], v[66:67]
	v_fma_f64 v[90:91], v[112:113], s[22:23], -v[114:115]
	v_add_f64 v[76:77], v[90:91], v[76:77]
	v_fma_f64 v[90:91], v[124:125], s[8:9], v[126:127]
	s_waitcnt vmcnt(0)
	v_add_f64 v[38:39], v[38:39], v[4:5]
	scratch_load_b64 v[4:5], off, off offset:196 ; 8-byte Folded Reload
	v_add_f64 v[126:127], v[98:99], v[76:77]
	v_add_f64 v[128:129], v[90:91], v[66:67]
	;; [unrolled: 1-line block ×3, first 2 shown]
	v_fma_f64 v[60:61], v[18:19], s[22:23], v[88:89]
	s_delay_alu instid0(VALU_DEP_1) | instskip(SKIP_1) | instid1(VALU_DEP_1)
	v_add_f64 v[38:39], v[60:61], v[38:39]
	v_fma_f64 v[60:61], v[22:23], s[18:19], v[86:87]
	v_add_f64 v[38:39], v[60:61], v[38:39]
	v_fma_f64 v[60:61], v[26:27], s[2:3], v[175:176]
	s_delay_alu instid0(VALU_DEP_1) | instskip(SKIP_2) | instid1(VALU_DEP_1)
	v_add_f64 v[38:39], v[60:61], v[38:39]
	v_fma_f64 v[60:61], v[92:93], s[0:1], -v[206:207]
	s_waitcnt vmcnt(0)
	v_add_f64 v[60:61], v[60:61], v[4:5]
	v_fma_f64 v[4:5], v[112:113], s[2:3], -v[191:192]
	s_delay_alu instid0(VALU_DEP_2) | instskip(SKIP_1) | instid1(VALU_DEP_1)
	v_add_f64 v[60:61], v[64:65], v[60:61]
	v_fma_f64 v[64:65], v[16:17], s[22:23], -v[68:69]
	v_add_f64 v[60:61], v[64:65], v[60:61]
	v_fma_f64 v[64:65], v[20:21], s[18:19], -v[234:235]
	s_delay_alu instid0(VALU_DEP_1) | instskip(SKIP_1) | instid1(VALU_DEP_1)
	v_add_f64 v[60:61], v[64:65], v[60:61]
	v_fma_f64 v[64:65], v[24:25], s[2:3], -v[236:237]
	v_add_f64 v[60:61], v[64:65], v[60:61]
	v_fma_f64 v[64:65], v[116:117], s[8:9], v[238:239]
	s_delay_alu instid0(VALU_DEP_1) | instskip(SKIP_1) | instid1(VALU_DEP_1)
	v_add_f64 v[38:39], v[64:65], v[38:39]
	v_fma_f64 v[64:65], v[112:113], s[8:9], -v[72:73]
	v_add_f64 v[60:61], v[64:65], v[60:61]
	v_fma_f64 v[64:65], v[124:125], s[20:21], v[187:188]
	s_delay_alu instid0(VALU_DEP_2) | instskip(NEXT) | instid1(VALU_DEP_2)
	v_add_f64 v[130:131], v[62:63], v[60:61]
	v_add_f64 v[132:133], v[64:65], v[38:39]
	v_dual_mov_b32 v64, v80 :: v_dual_mov_b32 v65, v81
	v_dual_mov_b32 v66, v82 :: v_dual_mov_b32 v67, v83
	;; [unrolled: 1-line block ×4, first 2 shown]
	scratch_load_b64 v[0:1], off, off offset:188 ; 8-byte Folded Reload
	v_fma_f64 v[38:39], v[100:101], s[0:1], v[189:190]
	scratch_load_b64 v[2:3], off, off offset:276 ; 8-byte Folded Reload
	s_waitcnt vmcnt(1)
	v_add_f64 v[10:11], v[10:11], v[0:1]
	scratch_load_b64 v[0:1], off, off offset:180 ; 8-byte Folded Reload
	v_add_f64 v[10:11], v[38:39], v[10:11]
	v_fma_f64 v[38:39], v[96:97], s[0:1], -v[40:41]
	s_waitcnt vmcnt(0)
	v_add_f64 v[36:37], v[36:37], v[0:1]
	scratch_load_b64 v[0:1], off, off offset:156 ; 8-byte Folded Reload
	v_add_f64 v[36:37], v[38:39], v[36:37]
	v_fma_f64 v[38:39], v[18:19], s[10:11], v[42:43]
	s_delay_alu instid0(VALU_DEP_1) | instskip(SKIP_1) | instid1(VALU_DEP_1)
	v_add_f64 v[10:11], v[38:39], v[10:11]
	v_fma_f64 v[38:39], v[16:17], s[10:11], -v[44:45]
	v_add_f64 v[36:37], v[38:39], v[36:37]
	v_fma_f64 v[38:39], v[22:23], s[20:21], v[46:47]
	s_delay_alu instid0(VALU_DEP_1) | instskip(SKIP_1) | instid1(VALU_DEP_1)
	v_add_f64 v[10:11], v[38:39], v[10:11]
	v_fma_f64 v[38:39], v[20:21], s[20:21], -v[48:49]
	v_add_f64 v[36:37], v[38:39], v[36:37]
	v_fma_f64 v[38:39], v[26:27], s[22:23], v[50:51]
	s_delay_alu instid0(VALU_DEP_1) | instskip(SKIP_1) | instid1(VALU_DEP_1)
	v_add_f64 v[10:11], v[38:39], v[10:11]
	v_fma_f64 v[38:39], v[24:25], s[22:23], -v[52:53]
	v_add_f64 v[36:37], v[38:39], v[36:37]
	v_fma_f64 v[38:39], v[116:117], s[16:17], v[54:55]
	s_delay_alu instid0(VALU_DEP_1) | instskip(SKIP_1) | instid1(VALU_DEP_1)
	v_add_f64 v[10:11], v[38:39], v[10:11]
	v_fma_f64 v[38:39], v[112:113], s[16:17], -v[56:57]
	v_add_f64 v[36:37], v[38:39], v[36:37]
	v_fma_f64 v[38:39], v[124:125], s[2:3], v[58:59]
	s_delay_alu instid0(VALU_DEP_2) | instskip(NEXT) | instid1(VALU_DEP_2)
	v_add_f64 v[169:170], v[34:35], v[36:37]
	v_add_f64 v[171:172], v[38:39], v[10:11]
	v_fma_f64 v[10:11], v[94:95], s[16:17], v[252:253]
	v_fma_f64 v[34:35], v[92:93], s[16:17], -v[173:174]
	v_fma_f64 v[36:37], v[100:101], s[8:9], v[84:85]
	s_waitcnt vmcnt(0)
	s_delay_alu instid0(VALU_DEP_3)
	v_add_f64 v[10:11], v[10:11], v[0:1]
	scratch_load_b64 v[0:1], off, off offset:148 ; 8-byte Folded Reload
	v_add_f64 v[10:11], v[36:37], v[10:11]
	v_fma_f64 v[36:37], v[96:97], s[8:9], -v[254:255]
	scratch_load_b32 v255, off, off offset:76 ; 4-byte Folded Reload
	s_waitcnt vmcnt(1)
	v_add_f64 v[34:35], v[34:35], v[0:1]
	v_fma_f64 v[0:1], v[18:19], s[0:1], v[78:79]
	v_dual_mov_b32 v76, v202 :: v_dual_mov_b32 v77, v203
	v_dual_mov_b32 v78, v204 :: v_dual_mov_b32 v79, v205
	s_delay_alu instid0(VALU_DEP_4) | instskip(NEXT) | instid1(VALU_DEP_4)
	v_add_f64 v[34:35], v[36:37], v[34:35]
	v_add_f64 v[0:1], v[0:1], v[10:11]
	v_fma_f64 v[10:11], v[16:17], s[0:1], -v[74:75]
	v_dual_mov_b32 v72, v136 :: v_dual_mov_b32 v73, v137
	v_dual_mov_b32 v74, v138 :: v_dual_mov_b32 v75, v139
	s_delay_alu instid0(VALU_DEP_4) | instskip(NEXT) | instid1(VALU_DEP_4)
	v_add_f64 v[0:1], v[28:29], v[0:1]
	v_add_f64 v[10:11], v[10:11], v[34:35]
	v_fma_f64 v[28:29], v[20:21], s[2:3], -v[148:149]
	v_mov_b32_e32 v148, v193
	s_delay_alu instid0(VALU_DEP_2) | instskip(SKIP_1) | instid1(VALU_DEP_2)
	v_add_f64 v[10:11], v[28:29], v[10:11]
	v_fma_f64 v[28:29], v[26:27], s[10:11], v[151:152]
	v_add_f64 v[10:11], v[14:15], v[10:11]
	s_delay_alu instid0(VALU_DEP_2) | instskip(SKIP_3) | instid1(VALU_DEP_3)
	v_add_f64 v[0:1], v[28:29], v[0:1]
	v_fma_f64 v[14:15], v[116:117], s[18:19], v[70:71]
	v_dual_mov_b32 v71, v33 :: v_dual_mov_b32 v70, v32
	v_dual_mov_b32 v69, v31 :: v_dual_mov_b32 v68, v30
	v_add_f64 v[0:1], v[14:15], v[0:1]
	v_fma_f64 v[14:15], v[112:113], s[18:19], -v[232:233]
	v_mov_b32_e32 v233, v143
	v_dual_mov_b32 v143, v140 :: v_dual_mov_b32 v232, v150
	s_delay_alu instid0(VALU_DEP_3) | instskip(SKIP_1) | instid1(VALU_DEP_2)
	v_add_f64 v[10:11], v[14:15], v[10:11]
	v_fma_f64 v[14:15], v[124:125], s[22:23], v[12:13]
	v_add_f64 v[88:89], v[6:7], v[10:11]
	s_delay_alu instid0(VALU_DEP_2)
	v_add_f64 v[90:91], v[14:15], v[0:1]
	scratch_load_b64 v[0:1], off, off offset:268 ; 8-byte Folded Reload
	v_fma_f64 v[6:7], v[92:93], s[20:21], -v[2:3]
	scratch_load_b64 v[2:3], off, off offset:284 ; 8-byte Folded Reload
	s_waitcnt vmcnt(0)
	v_fma_f64 v[10:11], v[100:101], s[18:19], v[2:3]
	scratch_load_b64 v[2:3], off, off offset:140 ; 8-byte Folded Reload
	v_fma_f64 v[0:1], v[94:95], s[20:21], v[0:1]
	s_waitcnt vmcnt(0)
	s_delay_alu instid0(VALU_DEP_1)
	v_add_f64 v[0:1], v[0:1], v[2:3]
	scratch_load_b64 v[2:3], off, off offset:292 ; 8-byte Folded Reload
	v_add_f64 v[0:1], v[10:11], v[0:1]
	s_waitcnt vmcnt(0)
	v_fma_f64 v[14:15], v[96:97], s[18:19], -v[2:3]
	scratch_load_b64 v[2:3], off, off offset:132 ; 8-byte Folded Reload
	s_waitcnt vmcnt(0)
	v_add_f64 v[6:7], v[6:7], v[2:3]
	scratch_load_b64 v[2:3], off, off offset:300 ; 8-byte Folded Reload
	v_add_f64 v[6:7], v[14:15], v[6:7]
	s_waitcnt vmcnt(0)
	v_fma_f64 v[18:19], v[18:19], s[16:17], v[2:3]
	scratch_load_b64 v[2:3], off, off offset:308 ; 8-byte Folded Reload
	v_add_f64 v[0:1], v[18:19], v[0:1]
	s_waitcnt vmcnt(0)
	v_fma_f64 v[10:11], v[16:17], s[16:17], -v[2:3]
	scratch_load_b64 v[2:3], off, off offset:316 ; 8-byte Folded Reload
	v_add_f64 v[6:7], v[10:11], v[6:7]
	s_waitcnt vmcnt(0)
	v_fma_f64 v[14:15], v[22:23], s[10:11], v[2:3]
	scratch_load_b64 v[2:3], off, off offset:324 ; 8-byte Folded Reload
	v_add_f64 v[0:1], v[14:15], v[0:1]
	s_waitcnt vmcnt(0)
	v_fma_f64 v[12:13], v[20:21], s[10:11], -v[2:3]
	scratch_load_b64 v[2:3], off, off offset:332 ; 8-byte Folded Reload
	v_add_f64 v[6:7], v[12:13], v[6:7]
	s_waitcnt vmcnt(0)
	v_fma_f64 v[10:11], v[26:27], s[8:9], v[2:3]
	scratch_load_b64 v[2:3], off, off offset:340 ; 8-byte Folded Reload
	v_add_f64 v[0:1], v[10:11], v[0:1]
	s_waitcnt vmcnt(0)
	v_fma_f64 v[8:9], v[24:25], s[8:9], -v[2:3]
	s_clause 0x2
	scratch_load_b64 v[2:3], off, off offset:348
	scratch_load_b32 v191, off, off offset:68
	scratch_load_b32 v140, off, off offset:60
	v_add_f64 v[6:7], v[8:9], v[6:7]
	v_fma_f64 v[8:9], v[124:125], s[0:1], v[242:243]
	s_delay_alu instid0(VALU_DEP_2) | instskip(SKIP_3) | instid1(VALU_DEP_2)
	v_add_f64 v[4:5], v[4:5], v[6:7]
	s_waitcnt vmcnt(2)
	v_fma_f64 v[12:13], v[116:117], s[2:3], v[2:3]
	v_fma_f64 v[2:3], v[120:121], s[0:1], -v[185:186]
	v_add_f64 v[0:1], v[12:13], v[0:1]
	s_delay_alu instid0(VALU_DEP_2) | instskip(NEXT) | instid1(VALU_DEP_2)
	v_add_f64 v[16:17], v[2:3], v[4:5]
	v_add_f64 v[18:19], v[8:9], v[0:1]
	s_clause 0x1
	scratch_load_b32 v0, off, off offset:16
	scratch_load_b32 v1, off, off offset:4
	s_waitcnt vmcnt(1)
	v_and_b32_e32 v0, 0xffff, v0
	s_waitcnt vmcnt(0)
	s_delay_alu instid0(VALU_DEP_1)
	v_lshl_add_u32 v0, v0, 4, v1
	scratch_load_b128 v[1:4], off, off offset:84 ; 16-byte Folded Reload
	s_waitcnt vmcnt(0)
	ds_store_b128 v0, v[1:4]
	ds_store_b128 v0, v[153:156] offset:16
	ds_store_b128 v0, v[157:160] offset:32
	;; [unrolled: 1-line block ×6, first 2 shown]
	scratch_load_b128 v[1:4], off, off offset:212 ; 16-byte Folded Reload
	s_waitcnt vmcnt(0)
	ds_store_b128 v0, v[1:4] offset:112
	scratch_load_b128 v[1:4], off, off offset:116 ; 16-byte Folded Reload
	s_waitcnt vmcnt(0)
	ds_store_b128 v0, v[1:4] offset:128
	;; [unrolled: 3-line block ×5, first 2 shown]
	ds_store_b128 v0, v[126:129] offset:192
	ds_store_b128 v0, v[130:133] offset:208
	;; [unrolled: 1-line block ×5, first 2 shown]
.LBB0_13:
	s_or_b32 exec_lo, exec_lo, s33
	s_waitcnt lgkmcnt(0)
	s_waitcnt_vscnt null, 0x0
	s_barrier
	buffer_gl0_inv
	ds_load_b128 v[0:3], v142 offset:2720
	ds_load_b128 v[4:7], v142 offset:3264
	;; [unrolled: 1-line block ×6, first 2 shown]
	s_mov_b32 s8, 0x134454ff
	s_mov_b32 s9, 0xbfee6f0e
	;; [unrolled: 1-line block ×14, first 2 shown]
	s_waitcnt lgkmcnt(5)
	v_mul_f64 v[24:25], v[146:147], v[2:3]
	v_mul_f64 v[26:27], v[146:147], v[0:1]
	s_waitcnt lgkmcnt(4)
	v_mul_f64 v[28:29], v[210:211], v[6:7]
	v_mul_f64 v[30:31], v[210:211], v[4:5]
	;; [unrolled: 3-line block ×5, first 2 shown]
	s_mov_b32 s23, 0xbfe9e377
	s_mov_b32 s22, s18
	v_fma_f64 v[24:25], v[144:145], v[0:1], v[24:25]
	v_fma_f64 v[26:27], v[144:145], v[2:3], -v[26:27]
	v_fma_f64 v[28:29], v[208:209], v[4:5], v[28:29]
	v_fma_f64 v[30:31], v[208:209], v[6:7], -v[30:31]
	;; [unrolled: 2-line block ×5, first 2 shown]
	ds_load_b128 v[0:3], v142
	ds_load_b128 v[4:7], v142 offset:544
	ds_load_b128 v[8:11], v142 offset:1088
	;; [unrolled: 1-line block ×3, first 2 shown]
	s_waitcnt lgkmcnt(0)
	s_barrier
	buffer_gl0_inv
	v_add_f64 v[16:17], v[0:1], -v[24:25]
	v_add_f64 v[18:19], v[2:3], -v[26:27]
	;; [unrolled: 1-line block ×10, first 2 shown]
	v_fma_f64 v[0:1], v[0:1], 2.0, -v[16:17]
	v_fma_f64 v[2:3], v[2:3], 2.0, -v[18:19]
	;; [unrolled: 1-line block ×10, first 2 shown]
	ds_store_b128 v233, v[0:3]
	ds_store_b128 v233, v[16:19] offset:272
	ds_store_b128 v232, v[4:7]
	ds_store_b128 v232, v[24:27] offset:272
	;; [unrolled: 2-line block ×5, first 2 shown]
	s_waitcnt lgkmcnt(0)
	s_barrier
	buffer_gl0_inv
	ds_load_b128 v[0:3], v142 offset:1632
	ds_load_b128 v[4:7], v142 offset:2720
	;; [unrolled: 1-line block ×6, first 2 shown]
	s_waitcnt lgkmcnt(5)
	v_mul_f64 v[24:25], v[218:219], v[0:1]
	s_waitcnt lgkmcnt(4)
	v_mul_f64 v[26:27], v[226:227], v[4:5]
	;; [unrolled: 2-line block ×5, first 2 shown]
	v_mul_f64 v[38:39], v[218:219], v[2:3]
	v_mul_f64 v[40:41], v[226:227], v[6:7]
	v_mul_f64 v[42:43], v[222:223], v[10:11]
	v_mul_f64 v[44:45], v[230:231], v[14:15]
	s_waitcnt lgkmcnt(0)
	v_mul_f64 v[48:49], v[82:83], v[20:21]
	v_mul_f64 v[62:63], v[66:67], v[18:19]
	v_fma_f64 v[46:47], v[216:217], v[2:3], -v[24:25]
	v_fma_f64 v[6:7], v[224:225], v[6:7], -v[26:27]
	;; [unrolled: 1-line block ×4, first 2 shown]
	ds_load_b128 v[24:27], v142 offset:2176
	ds_load_b128 v[28:31], v142 offset:3264
	;; [unrolled: 1-line block ×3, first 2 shown]
	v_mul_f64 v[2:3], v[82:83], v[22:23]
	v_fma_f64 v[38:39], v[216:217], v[0:1], v[38:39]
	v_fma_f64 v[4:5], v[224:225], v[4:5], v[40:41]
	;; [unrolled: 1-line block ×4, first 2 shown]
	v_fma_f64 v[18:19], v[64:65], v[18:19], -v[36:37]
	v_fma_f64 v[22:23], v[80:81], v[22:23], -v[48:49]
	v_fma_f64 v[16:17], v[64:65], v[16:17], v[62:63]
	s_waitcnt lgkmcnt(2)
	v_mul_f64 v[50:51], v[78:79], v[26:27]
	v_mul_f64 v[52:53], v[78:79], v[24:25]
	s_waitcnt lgkmcnt(1)
	v_mul_f64 v[54:55], v[74:75], v[30:31]
	s_waitcnt lgkmcnt(0)
	v_mul_f64 v[56:57], v[70:71], v[34:35]
	v_mul_f64 v[58:59], v[74:75], v[28:29]
	;; [unrolled: 1-line block ×3, first 2 shown]
	v_add_f64 v[62:63], v[46:47], -v[6:7]
	v_add_f64 v[0:1], v[6:7], v[10:11]
	v_add_f64 v[36:37], v[46:47], v[14:15]
	v_add_f64 v[64:65], v[14:15], -v[10:11]
	v_fma_f64 v[20:21], v[80:81], v[20:21], v[2:3]
	v_add_f64 v[66:67], v[6:7], -v[46:47]
	v_add_f64 v[70:71], v[6:7], -v[10:11]
	v_add_f64 v[40:41], v[4:5], v[8:9]
	v_add_f64 v[42:43], v[38:39], v[12:13]
	v_add_f64 v[44:45], v[38:39], -v[12:13]
	v_add_f64 v[48:49], v[4:5], -v[8:9]
	;; [unrolled: 1-line block ×5, first 2 shown]
	v_fma_f64 v[24:25], v[76:77], v[24:25], v[50:51]
	v_fma_f64 v[26:27], v[76:77], v[26:27], -v[52:53]
	v_fma_f64 v[28:29], v[72:73], v[28:29], v[54:55]
	v_fma_f64 v[32:33], v[68:69], v[32:33], v[56:57]
	v_fma_f64 v[30:31], v[72:73], v[30:31], -v[58:59]
	v_fma_f64 v[34:35], v[68:69], v[34:35], -v[60:61]
	v_add_f64 v[60:61], v[46:47], -v[14:15]
	v_add_f64 v[68:69], v[10:11], -v[14:15]
	v_fma_f64 v[50:51], v[0:1], -0.5, v[18:19]
	v_fma_f64 v[36:37], v[36:37], -0.5, v[18:19]
	ds_load_b128 v[0:3], v142
	v_add_f64 v[18:19], v[18:19], v[46:47]
	v_fma_f64 v[40:41], v[40:41], -0.5, v[16:17]
	v_fma_f64 v[42:43], v[42:43], -0.5, v[16:17]
	v_add_f64 v[16:17], v[16:17], v[38:39]
	v_add_f64 v[38:39], v[4:5], -v[38:39]
	v_add_f64 v[90:91], v[22:23], -v[26:27]
	v_add_f64 v[52:53], v[24:25], v[28:29]
	v_add_f64 v[54:55], v[20:21], v[32:33]
	;; [unrolled: 1-line block ×4, first 2 shown]
	s_waitcnt lgkmcnt(0)
	v_add_f64 v[76:77], v[0:1], v[20:21]
	v_add_f64 v[82:83], v[2:3], v[22:23]
	v_add_f64 v[78:79], v[22:23], -v[34:35]
	v_add_f64 v[80:81], v[26:27], -v[30:31]
	;; [unrolled: 1-line block ×5, first 2 shown]
	v_fma_f64 v[72:73], v[44:45], s[0:1], v[50:51]
	v_fma_f64 v[74:75], v[48:49], s[8:9], v[36:37]
	;; [unrolled: 1-line block ×4, first 2 shown]
	v_add_f64 v[6:7], v[18:19], v[6:7]
	v_add_f64 v[4:5], v[16:17], v[4:5]
	;; [unrolled: 1-line block ×4, first 2 shown]
	v_fma_f64 v[46:47], v[52:53], -0.5, v[0:1]
	v_add_f64 v[52:53], v[20:21], -v[32:33]
	v_fma_f64 v[0:1], v[54:55], -0.5, v[0:1]
	v_add_f64 v[54:55], v[24:25], -v[28:29]
	v_fma_f64 v[56:57], v[56:57], -0.5, v[2:3]
	v_fma_f64 v[2:3], v[58:59], -0.5, v[2:3]
	v_add_f64 v[58:59], v[62:63], v[64:65]
	v_add_f64 v[62:63], v[66:67], v[68:69]
	v_fma_f64 v[64:65], v[60:61], s[8:9], v[40:41]
	v_fma_f64 v[40:41], v[60:61], s[0:1], v[40:41]
	;; [unrolled: 1-line block ×4, first 2 shown]
	v_add_f64 v[26:27], v[82:83], v[26:27]
	v_add_f64 v[22:23], v[22:23], v[94:95]
	v_fma_f64 v[68:69], v[48:49], s[2:3], v[72:73]
	v_fma_f64 v[72:73], v[44:45], s[2:3], v[74:75]
	;; [unrolled: 1-line block ×4, first 2 shown]
	v_add_f64 v[48:49], v[20:21], -v[24:25]
	v_add_f64 v[20:21], v[24:25], -v[20:21]
	v_add_f64 v[24:25], v[76:77], v[24:25]
	v_add_f64 v[50:51], v[32:33], -v[28:29]
	v_add_f64 v[74:75], v[28:29], -v[32:33]
	v_add_f64 v[4:5], v[4:5], v[8:9]
	v_add_f64 v[6:7], v[6:7], v[10:11]
	v_fma_f64 v[18:19], v[78:79], s[8:9], v[46:47]
	v_fma_f64 v[46:47], v[78:79], s[0:1], v[46:47]
	;; [unrolled: 1-line block ×12, first 2 shown]
	v_add_f64 v[26:27], v[26:27], v[30:31]
	v_fma_f64 v[60:61], v[58:59], s[10:11], v[68:69]
	v_fma_f64 v[68:69], v[62:63], s[10:11], v[72:73]
	;; [unrolled: 1-line block ×4, first 2 shown]
	v_add_f64 v[24:25], v[24:25], v[28:29]
	v_add_f64 v[48:49], v[48:49], v[50:51]
	;; [unrolled: 1-line block ×6, first 2 shown]
	v_fma_f64 v[8:9], v[80:81], s[16:17], v[18:19]
	v_fma_f64 v[10:11], v[80:81], s[2:3], v[46:47]
	;; [unrolled: 1-line block ×12, first 2 shown]
	v_add_f64 v[26:27], v[26:27], v[34:35]
	v_mul_f64 v[42:43], v[60:61], s[16:17]
	v_mul_f64 v[60:61], v[60:61], s[18:19]
	;; [unrolled: 1-line block ×8, first 2 shown]
	v_add_f64 v[24:25], v[24:25], v[32:33]
	v_fma_f64 v[32:33], v[48:49], s[10:11], v[8:9]
	v_fma_f64 v[34:35], v[48:49], s[10:11], v[10:11]
	;; [unrolled: 1-line block ×8, first 2 shown]
	v_add_f64 v[2:3], v[26:27], v[6:7]
	v_add_f64 v[6:7], v[26:27], -v[6:7]
	v_fma_f64 v[28:29], v[52:53], s[18:19], v[42:43]
	v_fma_f64 v[52:53], v[52:53], s[2:3], v[60:61]
	;; [unrolled: 1-line block ×8, first 2 shown]
	v_add_f64 v[0:1], v[24:25], v[4:5]
	v_add_f64 v[4:5], v[24:25], -v[4:5]
	s_and_b32 s0, exec_lo, vcc_lo
	v_add_f64 v[8:9], v[32:33], v[28:29]
	v_add_f64 v[10:11], v[66:67], v[52:53]
	;; [unrolled: 1-line block ×8, first 2 shown]
	v_add_f64 v[24:25], v[32:33], -v[28:29]
	v_add_f64 v[26:27], v[66:67], -v[52:53]
	;; [unrolled: 1-line block ×8, first 2 shown]
	ds_store_b128 v143, v[0:3]
	ds_store_b128 v141, v[8:11] offset:544
	ds_store_b128 v141, v[12:15] offset:1088
	ds_store_b128 v141, v[16:19] offset:1632
	ds_store_b128 v141, v[20:23] offset:2176
	ds_store_b128 v141, v[4:7] offset:2720
	ds_store_b128 v141, v[24:27] offset:3264
	ds_store_b128 v141, v[28:31] offset:3808
	ds_store_b128 v141, v[32:35] offset:4352
	ds_store_b128 v141, v[36:39] offset:4896
	s_waitcnt lgkmcnt(0)
	s_barrier
	buffer_gl0_inv
	scratch_load_b64 v[15:16], off, off offset:8 ; 8-byte Folded Reload
	s_mov_b32 exec_lo, s0
	s_cbranch_execz .LBB0_15
; %bb.14:
	global_load_b128 v[0:3], v255, s[12:13]
	ds_load_b128 v[4:7], v143
	ds_load_b128 v[8:11], v141 offset:320
	scratch_load_b32 v16, off, off          ; 4-byte Folded Reload
	s_mov_b32 s0, 0x18181818
	s_mov_b32 s1, 0x3f681818
	s_mul_i32 s2, s5, 0x140
	s_mul_i32 s3, s4, 0x140
	s_waitcnt vmcnt(1) lgkmcnt(1)
	v_mul_f64 v[12:13], v[6:7], v[2:3]
	v_mul_f64 v[2:3], v[4:5], v[2:3]
	s_delay_alu instid0(VALU_DEP_2) | instskip(NEXT) | instid1(VALU_DEP_2)
	v_fma_f64 v[4:5], v[4:5], v[0:1], v[12:13]
	v_fma_f64 v[0:1], v[0:1], v[6:7], -v[2:3]
	v_mad_u64_u32 v[6:7], null, s6, v15, 0
	s_waitcnt vmcnt(0)
	v_mad_u64_u32 v[12:13], null, s4, v16, 0
	s_mul_hi_u32 s6, s4, 0x140
	s_delay_alu instid0(SALU_CYCLE_1) | instskip(NEXT) | instid1(VALU_DEP_4)
	s_add_i32 s2, s6, s2
	v_mul_f64 v[2:3], v[4:5], s[0:1]
	s_delay_alu instid0(VALU_DEP_4) | instskip(NEXT) | instid1(VALU_DEP_3)
	v_mul_f64 v[4:5], v[0:1], s[0:1]
	v_dual_mov_b32 v0, v7 :: v_dual_mov_b32 v1, v13
	s_delay_alu instid0(VALU_DEP_1) | instskip(NEXT) | instid1(VALU_DEP_1)
	v_mad_u64_u32 v[13:14], null, s7, v15, v[0:1]
	v_mov_b32_e32 v7, v13
	v_mad_u64_u32 v[14:15], null, s5, v16, v[1:2]
	s_delay_alu instid0(VALU_DEP_2) | instskip(NEXT) | instid1(VALU_DEP_1)
	v_lshlrev_b64 v[0:1], 4, v[6:7]
	v_add_co_u32 v0, vcc_lo, s14, v0
	s_delay_alu instid0(VALU_DEP_3) | instskip(NEXT) | instid1(VALU_DEP_3)
	v_mov_b32_e32 v13, v14
	v_add_co_ci_u32_e32 v1, vcc_lo, s15, v1, vcc_lo
	s_delay_alu instid0(VALU_DEP_2) | instskip(NEXT) | instid1(VALU_DEP_1)
	v_lshlrev_b64 v[6:7], 4, v[12:13]
	v_add_co_u32 v6, vcc_lo, v0, v6
	s_delay_alu instid0(VALU_DEP_2) | instskip(NEXT) | instid1(VALU_DEP_2)
	v_add_co_ci_u32_e32 v7, vcc_lo, v1, v7, vcc_lo
	v_add_co_u32 v14, vcc_lo, v6, s3
	global_store_b128 v[6:7], v[2:5], off
	global_load_b128 v[2:5], v255, s[12:13] offset:320
	v_add_co_ci_u32_e32 v15, vcc_lo, s2, v7, vcc_lo
	s_waitcnt vmcnt(0) lgkmcnt(0)
	v_mul_f64 v[12:13], v[10:11], v[4:5]
	v_mul_f64 v[4:5], v[8:9], v[4:5]
	s_delay_alu instid0(VALU_DEP_2) | instskip(NEXT) | instid1(VALU_DEP_2)
	v_fma_f64 v[8:9], v[8:9], v[2:3], v[12:13]
	v_fma_f64 v[4:5], v[2:3], v[10:11], -v[4:5]
	s_delay_alu instid0(VALU_DEP_2) | instskip(NEXT) | instid1(VALU_DEP_2)
	v_mul_f64 v[2:3], v[8:9], s[0:1]
	v_mul_f64 v[4:5], v[4:5], s[0:1]
	global_store_b128 v[14:15], v[2:5], off
	global_load_b128 v[2:5], v255, s[12:13] offset:640
	ds_load_b128 v[6:9], v141 offset:640
	ds_load_b128 v[10:13], v141 offset:960
	s_waitcnt vmcnt(0) lgkmcnt(1)
	v_mul_f64 v[16:17], v[8:9], v[4:5]
	v_mul_f64 v[4:5], v[6:7], v[4:5]
	s_delay_alu instid0(VALU_DEP_2) | instskip(NEXT) | instid1(VALU_DEP_2)
	v_fma_f64 v[6:7], v[6:7], v[2:3], v[16:17]
	v_fma_f64 v[4:5], v[2:3], v[8:9], -v[4:5]
	s_delay_alu instid0(VALU_DEP_2) | instskip(NEXT) | instid1(VALU_DEP_2)
	v_mul_f64 v[2:3], v[6:7], s[0:1]
	v_mul_f64 v[4:5], v[4:5], s[0:1]
	v_add_co_u32 v6, vcc_lo, v14, s3
	v_add_co_ci_u32_e32 v7, vcc_lo, s2, v15, vcc_lo
	s_delay_alu instid0(VALU_DEP_2) | instskip(NEXT) | instid1(VALU_DEP_2)
	v_add_co_u32 v14, vcc_lo, v6, s3
	v_add_co_ci_u32_e32 v15, vcc_lo, s2, v7, vcc_lo
	global_store_b128 v[6:7], v[2:5], off
	global_load_b128 v[2:5], v255, s[12:13] offset:960
	s_waitcnt vmcnt(0) lgkmcnt(0)
	v_mul_f64 v[8:9], v[12:13], v[4:5]
	v_mul_f64 v[4:5], v[10:11], v[4:5]
	s_delay_alu instid0(VALU_DEP_2) | instskip(NEXT) | instid1(VALU_DEP_2)
	v_fma_f64 v[8:9], v[10:11], v[2:3], v[8:9]
	v_fma_f64 v[4:5], v[2:3], v[12:13], -v[4:5]
	s_delay_alu instid0(VALU_DEP_2) | instskip(NEXT) | instid1(VALU_DEP_2)
	v_mul_f64 v[2:3], v[8:9], s[0:1]
	v_mul_f64 v[4:5], v[4:5], s[0:1]
	global_store_b128 v[14:15], v[2:5], off
	global_load_b128 v[2:5], v255, s[12:13] offset:1280
	ds_load_b128 v[6:9], v141 offset:1280
	ds_load_b128 v[10:13], v141 offset:1600
	s_waitcnt vmcnt(0) lgkmcnt(1)
	v_mul_f64 v[16:17], v[8:9], v[4:5]
	v_mul_f64 v[4:5], v[6:7], v[4:5]
	s_delay_alu instid0(VALU_DEP_2) | instskip(NEXT) | instid1(VALU_DEP_2)
	v_fma_f64 v[6:7], v[6:7], v[2:3], v[16:17]
	v_fma_f64 v[4:5], v[2:3], v[8:9], -v[4:5]
	s_delay_alu instid0(VALU_DEP_2) | instskip(NEXT) | instid1(VALU_DEP_2)
	v_mul_f64 v[2:3], v[6:7], s[0:1]
	v_mul_f64 v[4:5], v[4:5], s[0:1]
	v_add_co_u32 v6, vcc_lo, v14, s3
	v_add_co_ci_u32_e32 v7, vcc_lo, s2, v15, vcc_lo
	s_delay_alu instid0(VALU_DEP_2) | instskip(NEXT) | instid1(VALU_DEP_2)
	v_add_co_u32 v14, vcc_lo, v6, s3
	v_add_co_ci_u32_e32 v15, vcc_lo, s2, v7, vcc_lo
	global_store_b128 v[6:7], v[2:5], off
	global_load_b128 v[2:5], v255, s[12:13] offset:1600
	;; [unrolled: 29-line block ×3, first 2 shown]
	s_waitcnt vmcnt(0) lgkmcnt(0)
	v_mul_f64 v[8:9], v[12:13], v[4:5]
	v_mul_f64 v[4:5], v[10:11], v[4:5]
	s_delay_alu instid0(VALU_DEP_2) | instskip(NEXT) | instid1(VALU_DEP_2)
	v_fma_f64 v[8:9], v[10:11], v[2:3], v[8:9]
	v_fma_f64 v[4:5], v[2:3], v[12:13], -v[4:5]
	s_delay_alu instid0(VALU_DEP_2) | instskip(NEXT) | instid1(VALU_DEP_2)
	v_mul_f64 v[2:3], v[8:9], s[0:1]
	v_mul_f64 v[4:5], v[4:5], s[0:1]
	global_store_b128 v[14:15], v[2:5], off
	global_load_b128 v[2:5], v255, s[12:13] offset:2560
	ds_load_b128 v[6:9], v141 offset:2560
	ds_load_b128 v[10:13], v141 offset:2880
	scratch_load_b32 v18, off, off offset:24 ; 4-byte Folded Reload
	s_waitcnt vmcnt(1) lgkmcnt(1)
	v_mul_f64 v[16:17], v[8:9], v[4:5]
	v_mul_f64 v[4:5], v[6:7], v[4:5]
	s_delay_alu instid0(VALU_DEP_2) | instskip(NEXT) | instid1(VALU_DEP_2)
	v_fma_f64 v[6:7], v[6:7], v[2:3], v[16:17]
	v_fma_f64 v[4:5], v[2:3], v[8:9], -v[4:5]
	s_waitcnt vmcnt(0)
	v_mad_u64_u32 v[8:9], null, s4, v18, 0
	s_delay_alu instid0(VALU_DEP_3) | instskip(NEXT) | instid1(VALU_DEP_2)
	v_mul_f64 v[2:3], v[6:7], s[0:1]
	v_mov_b32_e32 v6, v9
	s_delay_alu instid0(VALU_DEP_4) | instskip(NEXT) | instid1(VALU_DEP_2)
	v_mul_f64 v[4:5], v[4:5], s[0:1]
	v_mad_u64_u32 v[16:17], null, s5, v18, v[6:7]
	s_delay_alu instid0(VALU_DEP_1) | instskip(SKIP_1) | instid1(VALU_DEP_2)
	v_mov_b32_e32 v9, v16
	v_mad_u64_u32 v[16:17], null, 0x280, s4, v[14:15]
	v_lshlrev_b64 v[6:7], 4, v[8:9]
	s_delay_alu instid0(VALU_DEP_1) | instskip(NEXT) | instid1(VALU_DEP_2)
	v_add_co_u32 v6, vcc_lo, v0, v6
	v_add_co_ci_u32_e32 v7, vcc_lo, v1, v7, vcc_lo
	global_store_b128 v[6:7], v[2:5], off
	global_load_b128 v[2:5], v255, s[12:13] offset:2880
	s_waitcnt vmcnt(0) lgkmcnt(0)
	v_mul_f64 v[6:7], v[12:13], v[4:5]
	v_mul_f64 v[4:5], v[10:11], v[4:5]
	s_delay_alu instid0(VALU_DEP_2) | instskip(NEXT) | instid1(VALU_DEP_2)
	v_fma_f64 v[6:7], v[10:11], v[2:3], v[6:7]
	v_fma_f64 v[4:5], v[2:3], v[12:13], -v[4:5]
	s_delay_alu instid0(VALU_DEP_2) | instskip(SKIP_1) | instid1(VALU_DEP_3)
	v_mul_f64 v[2:3], v[6:7], s[0:1]
	v_mov_b32_e32 v6, v17
	v_mul_f64 v[4:5], v[4:5], s[0:1]
	s_delay_alu instid0(VALU_DEP_2) | instskip(NEXT) | instid1(VALU_DEP_1)
	v_mad_u64_u32 v[7:8], null, 0x280, s5, v[6:7]
	v_mov_b32_e32 v17, v7
	global_store_b128 v[16:17], v[2:5], off
	global_load_b128 v[2:5], v255, s[12:13] offset:3200
	ds_load_b128 v[6:9], v141 offset:3200
	ds_load_b128 v[10:13], v141 offset:3520
	s_waitcnt vmcnt(0) lgkmcnt(1)
	v_mul_f64 v[14:15], v[8:9], v[4:5]
	v_mul_f64 v[4:5], v[6:7], v[4:5]
	s_delay_alu instid0(VALU_DEP_2) | instskip(NEXT) | instid1(VALU_DEP_2)
	v_fma_f64 v[6:7], v[6:7], v[2:3], v[14:15]
	v_fma_f64 v[4:5], v[2:3], v[8:9], -v[4:5]
	s_delay_alu instid0(VALU_DEP_2) | instskip(NEXT) | instid1(VALU_DEP_2)
	v_mul_f64 v[2:3], v[6:7], s[0:1]
	v_mul_f64 v[4:5], v[4:5], s[0:1]
	v_add_co_u32 v6, vcc_lo, v16, s3
	v_add_co_ci_u32_e32 v7, vcc_lo, s2, v17, vcc_lo
	s_delay_alu instid0(VALU_DEP_2) | instskip(NEXT) | instid1(VALU_DEP_2)
	v_add_co_u32 v14, vcc_lo, v6, s3
	v_add_co_ci_u32_e32 v15, vcc_lo, s2, v7, vcc_lo
	global_store_b128 v[6:7], v[2:5], off
	global_load_b128 v[2:5], v255, s[12:13] offset:3520
	s_waitcnt vmcnt(0) lgkmcnt(0)
	v_mul_f64 v[8:9], v[12:13], v[4:5]
	v_mul_f64 v[4:5], v[10:11], v[4:5]
	s_delay_alu instid0(VALU_DEP_2) | instskip(NEXT) | instid1(VALU_DEP_2)
	v_fma_f64 v[8:9], v[10:11], v[2:3], v[8:9]
	v_fma_f64 v[4:5], v[2:3], v[12:13], -v[4:5]
	s_delay_alu instid0(VALU_DEP_2) | instskip(NEXT) | instid1(VALU_DEP_2)
	v_mul_f64 v[2:3], v[8:9], s[0:1]
	v_mul_f64 v[4:5], v[4:5], s[0:1]
	global_store_b128 v[14:15], v[2:5], off
	global_load_b128 v[2:5], v255, s[12:13] offset:3840
	ds_load_b128 v[6:9], v141 offset:3840
	ds_load_b128 v[10:13], v141 offset:4160
	s_waitcnt vmcnt(0) lgkmcnt(1)
	v_mul_f64 v[16:17], v[8:9], v[4:5]
	v_mul_f64 v[4:5], v[6:7], v[4:5]
	s_delay_alu instid0(VALU_DEP_2) | instskip(NEXT) | instid1(VALU_DEP_2)
	v_fma_f64 v[6:7], v[6:7], v[2:3], v[16:17]
	v_fma_f64 v[4:5], v[2:3], v[8:9], -v[4:5]
	v_add_co_u32 v8, s6, s12, v255
	s_delay_alu instid0(VALU_DEP_1) | instskip(NEXT) | instid1(VALU_DEP_4)
	v_add_co_ci_u32_e64 v9, null, s13, 0, s6
	v_mul_f64 v[2:3], v[6:7], s[0:1]
	s_delay_alu instid0(VALU_DEP_4) | instskip(SKIP_4) | instid1(VALU_DEP_4)
	v_mul_f64 v[4:5], v[4:5], s[0:1]
	v_add_co_u32 v6, vcc_lo, v14, s3
	v_add_co_ci_u32_e32 v7, vcc_lo, s2, v15, vcc_lo
	v_add_co_u32 v14, vcc_lo, 0x1000, v8
	v_add_co_ci_u32_e32 v15, vcc_lo, 0, v9, vcc_lo
	v_add_co_u32 v16, vcc_lo, v6, s3
	s_delay_alu instid0(VALU_DEP_4)
	v_add_co_ci_u32_e32 v17, vcc_lo, s2, v7, vcc_lo
	global_store_b128 v[6:7], v[2:5], off
	global_load_b128 v[2:5], v[14:15], off offset:64
	s_waitcnt vmcnt(0) lgkmcnt(0)
	v_mul_f64 v[8:9], v[12:13], v[4:5]
	v_mul_f64 v[4:5], v[10:11], v[4:5]
	s_delay_alu instid0(VALU_DEP_2) | instskip(NEXT) | instid1(VALU_DEP_2)
	v_fma_f64 v[8:9], v[10:11], v[2:3], v[8:9]
	v_fma_f64 v[4:5], v[2:3], v[12:13], -v[4:5]
	s_delay_alu instid0(VALU_DEP_2) | instskip(NEXT) | instid1(VALU_DEP_2)
	v_mul_f64 v[2:3], v[8:9], s[0:1]
	v_mul_f64 v[4:5], v[4:5], s[0:1]
	global_store_b128 v[16:17], v[2:5], off
	global_load_b128 v[2:5], v[14:15], off offset:384
	ds_load_b128 v[6:9], v141 offset:4480
	ds_load_b128 v[10:13], v141 offset:4800
	s_waitcnt vmcnt(0) lgkmcnt(1)
	v_mul_f64 v[18:19], v[8:9], v[4:5]
	v_mul_f64 v[4:5], v[6:7], v[4:5]
	s_delay_alu instid0(VALU_DEP_2) | instskip(NEXT) | instid1(VALU_DEP_2)
	v_fma_f64 v[6:7], v[6:7], v[2:3], v[18:19]
	v_fma_f64 v[4:5], v[2:3], v[8:9], -v[4:5]
	s_delay_alu instid0(VALU_DEP_2) | instskip(NEXT) | instid1(VALU_DEP_2)
	v_mul_f64 v[2:3], v[6:7], s[0:1]
	v_mul_f64 v[4:5], v[4:5], s[0:1]
	v_add_co_u32 v6, vcc_lo, v16, s3
	v_add_co_ci_u32_e32 v7, vcc_lo, s2, v17, vcc_lo
	global_store_b128 v[6:7], v[2:5], off
	global_load_b128 v[2:5], v[14:15], off offset:704
	v_add_co_u32 v6, vcc_lo, v6, s3
	v_add_co_ci_u32_e32 v7, vcc_lo, s2, v7, vcc_lo
	s_waitcnt vmcnt(0) lgkmcnt(0)
	v_mul_f64 v[8:9], v[12:13], v[4:5]
	v_mul_f64 v[4:5], v[10:11], v[4:5]
	s_delay_alu instid0(VALU_DEP_2) | instskip(NEXT) | instid1(VALU_DEP_2)
	v_fma_f64 v[8:9], v[10:11], v[2:3], v[8:9]
	v_fma_f64 v[4:5], v[2:3], v[12:13], -v[4:5]
	scratch_load_b32 v12, off, off offset:20 ; 4-byte Folded Reload
	v_mul_f64 v[2:3], v[8:9], s[0:1]
	v_mul_f64 v[4:5], v[4:5], s[0:1]
	global_store_b128 v[6:7], v[2:5], off
	s_waitcnt vmcnt(0)
	v_lshlrev_b32_e32 v8, 4, v12
	global_load_b128 v[2:5], v8, s[12:13]
	ds_load_b128 v[6:9], v141 offset:5120
	s_waitcnt vmcnt(0) lgkmcnt(0)
	v_mul_f64 v[10:11], v[8:9], v[4:5]
	v_mul_f64 v[4:5], v[6:7], v[4:5]
	s_delay_alu instid0(VALU_DEP_2) | instskip(NEXT) | instid1(VALU_DEP_2)
	v_fma_f64 v[6:7], v[6:7], v[2:3], v[10:11]
	v_fma_f64 v[4:5], v[2:3], v[8:9], -v[4:5]
	v_mad_u64_u32 v[8:9], null, s4, v12, 0
	s_delay_alu instid0(VALU_DEP_3) | instskip(NEXT) | instid1(VALU_DEP_2)
	v_mul_f64 v[2:3], v[6:7], s[0:1]
	v_mov_b32_e32 v6, v9
	s_delay_alu instid0(VALU_DEP_4) | instskip(NEXT) | instid1(VALU_DEP_2)
	v_mul_f64 v[4:5], v[4:5], s[0:1]
	v_mad_u64_u32 v[9:10], null, s5, v12, v[6:7]
	s_delay_alu instid0(VALU_DEP_1) | instskip(NEXT) | instid1(VALU_DEP_1)
	v_lshlrev_b64 v[6:7], 4, v[8:9]
	v_add_co_u32 v0, vcc_lo, v0, v6
	s_delay_alu instid0(VALU_DEP_2)
	v_add_co_ci_u32_e32 v1, vcc_lo, v1, v7, vcc_lo
	global_store_b128 v[0:1], v[2:5], off
.LBB0_15:
	s_nop 0
	s_sendmsg sendmsg(MSG_DEALLOC_VGPRS)
	s_endpgm
	.section	.rodata,"a",@progbits
	.p2align	6, 0x0
	.amdhsa_kernel bluestein_single_fwd_len340_dim1_dp_op_CI_CI
		.amdhsa_group_segment_fixed_size 16320
		.amdhsa_private_segment_fixed_size 632
		.amdhsa_kernarg_size 104
		.amdhsa_user_sgpr_count 15
		.amdhsa_user_sgpr_dispatch_ptr 0
		.amdhsa_user_sgpr_queue_ptr 0
		.amdhsa_user_sgpr_kernarg_segment_ptr 1
		.amdhsa_user_sgpr_dispatch_id 0
		.amdhsa_user_sgpr_private_segment_size 0
		.amdhsa_wavefront_size32 1
		.amdhsa_uses_dynamic_stack 0
		.amdhsa_enable_private_segment 1
		.amdhsa_system_sgpr_workgroup_id_x 1
		.amdhsa_system_sgpr_workgroup_id_y 0
		.amdhsa_system_sgpr_workgroup_id_z 0
		.amdhsa_system_sgpr_workgroup_info 0
		.amdhsa_system_vgpr_workitem_id 0
		.amdhsa_next_free_vgpr 256
		.amdhsa_next_free_sgpr 58
		.amdhsa_reserve_vcc 1
		.amdhsa_float_round_mode_32 0
		.amdhsa_float_round_mode_16_64 0
		.amdhsa_float_denorm_mode_32 3
		.amdhsa_float_denorm_mode_16_64 3
		.amdhsa_dx10_clamp 1
		.amdhsa_ieee_mode 1
		.amdhsa_fp16_overflow 0
		.amdhsa_workgroup_processor_mode 1
		.amdhsa_memory_ordered 1
		.amdhsa_forward_progress 0
		.amdhsa_shared_vgpr_count 0
		.amdhsa_exception_fp_ieee_invalid_op 0
		.amdhsa_exception_fp_denorm_src 0
		.amdhsa_exception_fp_ieee_div_zero 0
		.amdhsa_exception_fp_ieee_overflow 0
		.amdhsa_exception_fp_ieee_underflow 0
		.amdhsa_exception_fp_ieee_inexact 0
		.amdhsa_exception_int_div_zero 0
	.end_amdhsa_kernel
	.text
.Lfunc_end0:
	.size	bluestein_single_fwd_len340_dim1_dp_op_CI_CI, .Lfunc_end0-bluestein_single_fwd_len340_dim1_dp_op_CI_CI
                                        ; -- End function
	.section	.AMDGPU.csdata,"",@progbits
; Kernel info:
; codeLenInByte = 27132
; NumSgprs: 60
; NumVgprs: 256
; ScratchSize: 632
; MemoryBound: 0
; FloatMode: 240
; IeeeMode: 1
; LDSByteSize: 16320 bytes/workgroup (compile time only)
; SGPRBlocks: 7
; VGPRBlocks: 31
; NumSGPRsForWavesPerEU: 60
; NumVGPRsForWavesPerEU: 256
; Occupancy: 5
; WaveLimiterHint : 1
; COMPUTE_PGM_RSRC2:SCRATCH_EN: 1
; COMPUTE_PGM_RSRC2:USER_SGPR: 15
; COMPUTE_PGM_RSRC2:TRAP_HANDLER: 0
; COMPUTE_PGM_RSRC2:TGID_X_EN: 1
; COMPUTE_PGM_RSRC2:TGID_Y_EN: 0
; COMPUTE_PGM_RSRC2:TGID_Z_EN: 0
; COMPUTE_PGM_RSRC2:TIDIG_COMP_CNT: 0
	.text
	.p2alignl 7, 3214868480
	.fill 96, 4, 3214868480
	.type	__hip_cuid_6337d153db17023b,@object ; @__hip_cuid_6337d153db17023b
	.section	.bss,"aw",@nobits
	.globl	__hip_cuid_6337d153db17023b
__hip_cuid_6337d153db17023b:
	.byte	0                               ; 0x0
	.size	__hip_cuid_6337d153db17023b, 1

	.ident	"AMD clang version 19.0.0git (https://github.com/RadeonOpenCompute/llvm-project roc-6.4.0 25133 c7fe45cf4b819c5991fe208aaa96edf142730f1d)"
	.section	".note.GNU-stack","",@progbits
	.addrsig
	.addrsig_sym __hip_cuid_6337d153db17023b
	.amdgpu_metadata
---
amdhsa.kernels:
  - .args:
      - .actual_access:  read_only
        .address_space:  global
        .offset:         0
        .size:           8
        .value_kind:     global_buffer
      - .actual_access:  read_only
        .address_space:  global
        .offset:         8
        .size:           8
        .value_kind:     global_buffer
      - .actual_access:  read_only
        .address_space:  global
        .offset:         16
        .size:           8
        .value_kind:     global_buffer
      - .actual_access:  read_only
        .address_space:  global
        .offset:         24
        .size:           8
        .value_kind:     global_buffer
      - .actual_access:  read_only
        .address_space:  global
        .offset:         32
        .size:           8
        .value_kind:     global_buffer
      - .offset:         40
        .size:           8
        .value_kind:     by_value
      - .address_space:  global
        .offset:         48
        .size:           8
        .value_kind:     global_buffer
      - .address_space:  global
        .offset:         56
        .size:           8
        .value_kind:     global_buffer
      - .address_space:  global
        .offset:         64
        .size:           8
        .value_kind:     global_buffer
      - .address_space:  global
        .offset:         72
        .size:           8
        .value_kind:     global_buffer
      - .offset:         80
        .size:           4
        .value_kind:     by_value
      - .address_space:  global
        .offset:         88
        .size:           8
        .value_kind:     global_buffer
      - .address_space:  global
        .offset:         96
        .size:           8
        .value_kind:     global_buffer
    .group_segment_fixed_size: 16320
    .kernarg_segment_align: 8
    .kernarg_segment_size: 104
    .language:       OpenCL C
    .language_version:
      - 2
      - 0
    .max_flat_workgroup_size: 102
    .name:           bluestein_single_fwd_len340_dim1_dp_op_CI_CI
    .private_segment_fixed_size: 632
    .sgpr_count:     60
    .sgpr_spill_count: 0
    .symbol:         bluestein_single_fwd_len340_dim1_dp_op_CI_CI.kd
    .uniform_work_group_size: 1
    .uses_dynamic_stack: false
    .vgpr_count:     256
    .vgpr_spill_count: 220
    .wavefront_size: 32
    .workgroup_processor_mode: 1
amdhsa.target:   amdgcn-amd-amdhsa--gfx1100
amdhsa.version:
  - 1
  - 2
...

	.end_amdgpu_metadata
